;; amdgpu-corpus repo=ROCm/rocFFT kind=compiled arch=gfx906 opt=O3
	.text
	.amdgcn_target "amdgcn-amd-amdhsa--gfx906"
	.amdhsa_code_object_version 6
	.protected	bluestein_single_fwd_len4050_dim1_sp_op_CI_CI ; -- Begin function bluestein_single_fwd_len4050_dim1_sp_op_CI_CI
	.globl	bluestein_single_fwd_len4050_dim1_sp_op_CI_CI
	.p2align	8
	.type	bluestein_single_fwd_len4050_dim1_sp_op_CI_CI,@function
bluestein_single_fwd_len4050_dim1_sp_op_CI_CI: ; @bluestein_single_fwd_len4050_dim1_sp_op_CI_CI
; %bb.0:
	s_load_dwordx4 s[12:15], s[4:5], 0x28
	s_mov_b64 s[26:27], s[2:3]
	v_mul_u32_u24_e32 v3, 0x1e6, v0
	s_mov_b64 s[24:25], s[0:1]
	v_add_u32_sdwa v1, s6, v3 dst_sel:DWORD dst_unused:UNUSED_PAD src0_sel:DWORD src1_sel:WORD_1
	v_mov_b32_e32 v2, 0
	s_add_u32 s24, s24, s7
	s_waitcnt lgkmcnt(0)
	v_cmp_gt_u64_e32 vcc, s[12:13], v[1:2]
	s_addc_u32 s25, s25, 0
	s_and_saveexec_b64 s[0:1], vcc
	s_cbranch_execz .LBB0_2
; %bb.1:
	s_load_dwordx4 s[8:11], s[4:5], 0x0
	s_load_dwordx4 s[20:23], s[4:5], 0x18
	s_load_dwordx2 s[12:13], s[4:5], 0x38
	s_movk_i32 s16, 0x87
	v_mul_lo_u16_sdwa v2, v3, s16 dst_sel:DWORD dst_unused:UNUSED_PAD src0_sel:WORD_1 src1_sel:DWORD
	v_sub_u16_e32 v138, v0, v2
	s_waitcnt lgkmcnt(0)
	s_load_dwordx4 s[0:3], s[22:23], 0x0
	v_lshlrev_b32_e32 v80, 3, v138
	v_mov_b32_e32 v34, 0xffff9250
	v_add_u32_e32 v245, 0x7400, v80
	v_mov_b32_e32 v227, s11
	s_waitcnt lgkmcnt(0)
	v_mad_u64_u32 v[4:5], s[4:5], s2, v1, 0
	v_mov_b32_e32 v211, v138
                                        ; kill: killed $sgpr8_sgpr9
	v_mov_b32_e32 v0, v5
	v_mad_u64_u32 v[2:3], s[2:3], s3, v1, v[0:1]
	v_mov_b32_e32 v5, v2
	buffer_store_dword v4, off, s[24:27], 0 offset:144 ; 4-byte Folded Spill
	s_nop 0
	buffer_store_dword v5, off, s[24:27], 0 offset:148 ; 4-byte Folded Spill
	global_load_dwordx2 v[6:7], v80, s[8:9]
	s_load_dwordx4 s[4:7], s[20:21], 0x0
	s_waitcnt lgkmcnt(0)
	v_mad_u64_u32 v[2:3], s[2:3], s6, v1, 0
	s_mul_hi_u32 s6, s4, 0xca8
	v_mov_b32_e32 v0, v3
	v_mad_u64_u32 v[0:1], s[2:3], s7, v1, v[0:1]
	s_mul_i32 s7, s4, 0xca8
	v_mov_b32_e32 v3, v0
	v_mad_u64_u32 v[0:1], s[2:3], s4, v138, 0
	v_mad_u64_u32 v[4:5], s[2:3], s5, v138, v[1:2]
	v_lshlrev_b64 v[2:3], 3, v[2:3]
	s_movk_i32 s2, 0x195
	v_mov_b32_e32 v1, v4
	v_add_co_u32_e32 v2, vcc, s14, v2
	v_mov_b32_e32 v4, s15
	v_lshlrev_b64 v[0:1], 3, v[0:1]
	v_addc_co_u32_e32 v3, vcc, v4, v3, vcc
	v_add_co_u32_e32 v2, vcc, v2, v0
	v_addc_co_u32_e32 v3, vcc, v3, v1, vcc
	global_load_dwordx2 v[4:5], v[2:3], off
	v_add_co_u32_e32 v242, vcc, s8, v80
	v_mov_b32_e32 v0, s9
	v_addc_co_u32_e32 v243, vcc, 0, v0, vcc
	v_add_co_u32_e32 v203, vcc, s2, v138
	v_addc_co_u32_e64 v160, s[2:3], 0, 0, vcc
	s_mul_i32 s2, s5, 0xca8
	s_add_i32 s6, s6, s2
	v_add_co_u32_e32 v2, vcc, s7, v2
	s_movk_i32 s2, 0x32a
	s_movk_i32 s3, 0x1000
	;; [unrolled: 1-line block ×3, first 2 shown]
	s_mulk_i32 s5, 0x9250
	s_sub_i32 s5, s5, s4
	s_waitcnt vmcnt(1)
	buffer_store_dword v6, off, s[24:27], 0 offset:232 ; 4-byte Folded Spill
	s_nop 0
	buffer_store_dword v7, off, s[24:27], 0 offset:236 ; 4-byte Folded Spill
	s_waitcnt vmcnt(2)
	v_mul_f32_e32 v0, v5, v7
	v_fmac_f32_e32 v0, v4, v6
	v_mul_f32_e32 v1, v4, v7
	v_mov_b32_e32 v4, s6
	v_addc_co_u32_e32 v3, vcc, v3, v4, vcc
	v_fma_f32 v1, v5, v6, -v1
	global_load_dwordx2 v[4:5], v[2:3], off
	global_load_dwordx2 v[7:8], v80, s[8:9] offset:3240
	v_add_co_u32_e32 v202, vcc, s2, v138
	v_add_co_u32_e32 v2, vcc, s7, v2
	s_movk_i32 s2, 0x4bf
	s_waitcnt vmcnt(0)
	buffer_store_dword v7, off, s[24:27], 0 offset:224 ; 4-byte Folded Spill
	s_nop 0
	buffer_store_dword v8, off, s[24:27], 0 offset:228 ; 4-byte Folded Spill
	v_mul_f32_e32 v6, v5, v8
	v_fmac_f32_e32 v6, v4, v7
	v_mul_f32_e32 v4, v4, v8
	v_fma_f32 v7, v5, v7, -v4
	v_mov_b32_e32 v4, s6
	v_addc_co_u32_e32 v3, vcc, v3, v4, vcc
	v_add_co_u32_e32 v12, vcc, s3, v242
	v_addc_co_u32_e32 v13, vcc, 0, v243, vcc
	ds_write_b64 v80, v[6:7] offset:3240
	global_load_dwordx2 v[7:8], v[12:13], off offset:2384
	global_load_dwordx2 v[4:5], v[2:3], off
	v_add_co_u32_e32 v204, vcc, s2, v138
	v_add_co_u32_e32 v2, vcc, s7, v2
	s_movk_i32 s2, 0x2000
                                        ; kill: killed $vgpr12 killed $vgpr13
	s_waitcnt vmcnt(1)
	buffer_store_dword v7, off, s[24:27], 0 offset:216 ; 4-byte Folded Spill
	s_nop 0
	buffer_store_dword v8, off, s[24:27], 0 offset:220 ; 4-byte Folded Spill
	s_waitcnt vmcnt(2)
	v_mul_f32_e32 v6, v5, v8
	v_fmac_f32_e32 v6, v4, v7
	v_mul_f32_e32 v4, v4, v8
	v_fma_f32 v7, v5, v7, -v4
	v_mov_b32_e32 v4, s6
	v_addc_co_u32_e32 v3, vcc, v3, v4, vcc
	v_add_co_u32_e32 v10, vcc, s2, v242
	v_addc_co_u32_e32 v11, vcc, 0, v243, vcc
	ds_write_b64 v80, v[6:7] offset:6480
	global_load_dwordx2 v[7:8], v[10:11], off offset:1528
	global_load_dwordx2 v[4:5], v[2:3], off
	v_add_co_u32_e32 v2, vcc, s7, v2
                                        ; kill: killed $vgpr10 killed $vgpr11
	s_waitcnt vmcnt(1)
	buffer_store_dword v7, off, s[24:27], 0 offset:208 ; 4-byte Folded Spill
	s_nop 0
	buffer_store_dword v8, off, s[24:27], 0 offset:212 ; 4-byte Folded Spill
	s_waitcnt vmcnt(2)
	v_mul_f32_e32 v6, v5, v8
	v_fmac_f32_e32 v6, v4, v7
	v_mul_f32_e32 v4, v4, v8
	v_fma_f32 v7, v5, v7, -v4
	v_mov_b32_e32 v4, s6
	v_addc_co_u32_e32 v3, vcc, v3, v4, vcc
	v_add_co_u32_e32 v8, vcc, s14, v242
	v_addc_co_u32_e32 v9, vcc, 0, v243, vcc
	global_load_dwordx2 v[14:15], v[8:9], off offset:672
	global_load_dwordx2 v[4:5], v[2:3], off
	ds_write_b64 v80, v[6:7] offset:9720
	v_add_co_u32_e32 v2, vcc, s7, v2
	s_movk_i32 s14, 0x4000
                                        ; kill: killed $vgpr8 killed $vgpr9
	s_waitcnt vmcnt(1)
	buffer_store_dword v14, off, s[24:27], 0 offset:200 ; 4-byte Folded Spill
	s_nop 0
	buffer_store_dword v15, off, s[24:27], 0 offset:204 ; 4-byte Folded Spill
	s_waitcnt vmcnt(2)
	v_mul_f32_e32 v6, v5, v15
	v_fmac_f32_e32 v6, v4, v14
	v_mul_f32_e32 v4, v4, v15
	v_fma_f32 v7, v5, v14, -v4
	v_mov_b32_e32 v4, s6
	ds_write_b64 v80, v[6:7] offset:12960
	v_addc_co_u32_e32 v3, vcc, v3, v4, vcc
	global_load_dwordx2 v[4:5], v[2:3], off
	global_load_dwordx2 v[14:15], v[8:9], off offset:3912
	v_add_co_u32_e32 v2, vcc, s7, v2
	s_waitcnt vmcnt(0)
	buffer_store_dword v14, off, s[24:27], 0 offset:136 ; 4-byte Folded Spill
	s_nop 0
	buffer_store_dword v15, off, s[24:27], 0 offset:140 ; 4-byte Folded Spill
	v_mul_f32_e32 v6, v5, v15
	v_fmac_f32_e32 v6, v4, v14
	v_mul_f32_e32 v4, v4, v15
	v_fma_f32 v7, v5, v14, -v4
	v_mov_b32_e32 v4, s6
	v_addc_co_u32_e32 v3, vcc, v3, v4, vcc
	ds_write_b64 v80, v[6:7] offset:16200
	v_add_co_u32_e32 v6, vcc, s14, v242
	v_addc_co_u32_e32 v7, vcc, 0, v243, vcc
	global_load_dwordx2 v[15:16], v[6:7], off offset:3056
	global_load_dwordx2 v[4:5], v[2:3], off
	v_add_co_u32_e32 v2, vcc, s7, v2
	s_movk_i32 s14, 0x5000
                                        ; kill: killed $vgpr6 killed $vgpr7
	s_waitcnt vmcnt(1)
	buffer_store_dword v15, off, s[24:27], 0 offset:104 ; 4-byte Folded Spill
	s_nop 0
	buffer_store_dword v16, off, s[24:27], 0 offset:108 ; 4-byte Folded Spill
	s_waitcnt vmcnt(2)
	v_mul_f32_e32 v14, v5, v16
	v_fmac_f32_e32 v14, v4, v15
	v_mul_f32_e32 v4, v4, v16
	v_fma_f32 v15, v5, v15, -v4
	v_mov_b32_e32 v4, s6
	v_addc_co_u32_e32 v3, vcc, v3, v4, vcc
	v_add_co_u32_e32 v4, vcc, s14, v242
	v_addc_co_u32_e32 v5, vcc, 0, v243, vcc
	global_load_dwordx2 v[17:18], v[4:5], off offset:2200
	ds_write_b64 v80, v[14:15] offset:19440
	global_load_dwordx2 v[14:15], v[2:3], off
	s_movk_i32 s14, 0x6000
                                        ; kill: killed $vgpr4 killed $vgpr5
	s_waitcnt vmcnt(1)
	buffer_store_dword v17, off, s[24:27], 0 offset:88 ; 4-byte Folded Spill
	s_nop 0
	buffer_store_dword v18, off, s[24:27], 0 offset:92 ; 4-byte Folded Spill
	s_waitcnt vmcnt(2)
	v_mul_f32_e32 v16, v15, v18
	v_fmac_f32_e32 v16, v14, v17
	v_mul_f32_e32 v14, v14, v18
	v_fma_f32 v17, v15, v17, -v14
	v_add_co_u32_e32 v14, vcc, s7, v2
	v_mov_b32_e32 v2, s6
	v_addc_co_u32_e32 v15, vcc, v3, v2, vcc
	v_add_co_u32_e32 v2, vcc, s14, v242
	v_addc_co_u32_e32 v3, vcc, 0, v243, vcc
	global_load_dwordx2 v[19:20], v[2:3], off offset:1344
	ds_write_b64 v80, v[16:17] offset:22680
	global_load_dwordx2 v[16:17], v[14:15], off
	v_add_co_u32_e32 v14, vcc, s7, v14
	s_movk_i32 s14, 0x7000
                                        ; kill: killed $vgpr2 killed $vgpr3
	s_waitcnt vmcnt(1)
	buffer_store_dword v19, off, s[24:27], 0 offset:64 ; 4-byte Folded Spill
	s_nop 0
	buffer_store_dword v20, off, s[24:27], 0 offset:68 ; 4-byte Folded Spill
	s_waitcnt vmcnt(2)
	v_mul_f32_e32 v18, v17, v20
	v_fmac_f32_e32 v18, v16, v19
	v_mul_f32_e32 v16, v16, v20
	v_fma_f32 v19, v17, v19, -v16
	v_mov_b32_e32 v16, s6
	v_addc_co_u32_e32 v15, vcc, v15, v16, vcc
	v_add_co_u32_e32 v224, vcc, s14, v242
	v_addc_co_u32_e32 v225, vcc, 0, v243, vcc
	ds_write_b64 v80, v[18:19] offset:25920
	global_load_dwordx2 v[19:20], v[224:225], off offset:488
	global_load_dwordx2 v[16:17], v[14:15], off
	v_add_co_u32_e32 v161, vcc, s16, v138
	v_addc_co_u32_e64 v120, s[14:15], 0, 0, vcc
	s_waitcnt vmcnt(1)
	buffer_store_dword v19, off, s[24:27], 0 offset:48 ; 4-byte Folded Spill
	s_nop 0
	buffer_store_dword v20, off, s[24:27], 0 offset:52 ; 4-byte Folded Spill
	s_waitcnt vmcnt(2)
	v_mul_f32_e32 v18, v17, v20
	v_fmac_f32_e32 v18, v16, v19
	v_mul_f32_e32 v16, v16, v20
	v_fma_f32 v19, v17, v19, -v16
	v_mov_b32_e32 v16, 0xffff9250
	v_mad_u64_u32 v[14:15], s[14:15], s4, v16, v[14:15]
	ds_write_b64 v80, v[18:19] offset:29160
	s_movk_i32 s14, 0x21c
	v_add_u32_e32 v15, s5, v15
	global_load_dwordx2 v[16:17], v[14:15], off
	global_load_dwordx2 v[19:20], v80, s[8:9] offset:1080
	v_add_co_u32_e32 v206, vcc, s14, v138
	s_movk_i32 s14, 0x3b1
	s_waitcnt vmcnt(0)
	buffer_store_dword v19, off, s[24:27], 0 offset:120 ; 4-byte Folded Spill
	s_nop 0
	buffer_store_dword v20, off, s[24:27], 0 offset:124 ; 4-byte Folded Spill
	v_mul_f32_e32 v18, v17, v20
	v_fmac_f32_e32 v18, v16, v19
	v_mul_f32_e32 v16, v16, v20
	v_fma_f32 v19, v17, v19, -v16
	ds_write2_b64 v80, v[0:1], v[18:19] offset1:135
	v_add_co_u32_e32 v0, vcc, s7, v14
	v_mov_b32_e32 v1, s6
	v_addc_co_u32_e32 v1, vcc, v15, v1, vcc
	global_load_dwordx2 v[14:15], v[0:1], off
	global_load_dwordx2 v[16:17], v[12:13], off offset:224
	v_add_co_u32_e32 v205, vcc, s14, v138
	v_add_co_u32_e32 v0, vcc, s7, v0
	s_movk_i32 s14, 0x10e
	s_waitcnt vmcnt(0)
	buffer_store_dword v16, off, s[24:27], 0 offset:96 ; 4-byte Folded Spill
	s_nop 0
	buffer_store_dword v17, off, s[24:27], 0 offset:100 ; 4-byte Folded Spill
	v_mul_f32_e32 v28, v15, v17
	v_fmac_f32_e32 v28, v14, v16
	v_mul_f32_e32 v14, v14, v17
	v_fma_f32 v29, v15, v16, -v14
	v_mov_b32_e32 v14, s6
	v_addc_co_u32_e32 v1, vcc, v1, v14, vcc
	global_load_dwordx2 v[14:15], v[0:1], off
	global_load_dwordx2 v[16:17], v[12:13], off offset:3464
	v_add_co_u32_e32 v0, vcc, s7, v0
	s_waitcnt vmcnt(0)
	buffer_store_dword v16, off, s[24:27], 0 offset:80 ; 4-byte Folded Spill
	s_nop 0
	buffer_store_dword v17, off, s[24:27], 0 offset:84 ; 4-byte Folded Spill
	v_mul_f32_e32 v26, v15, v17
	v_fmac_f32_e32 v26, v14, v16
	v_mul_f32_e32 v14, v14, v17
	v_fma_f32 v27, v15, v16, -v14
	v_mov_b32_e32 v14, s6
	v_addc_co_u32_e32 v1, vcc, v1, v14, vcc
	global_load_dwordx2 v[14:15], v[0:1], off
	global_load_dwordx2 v[16:17], v[10:11], off offset:2608
	v_add_co_u32_e32 v0, vcc, s7, v0
	;; [unrolled: 13-line block ×6, first 2 shown]
	s_waitcnt vmcnt(0)
	buffer_store_dword v30, off, s[24:27], 0 offset:16 ; 4-byte Folded Spill
	s_nop 0
	buffer_store_dword v31, off, s[24:27], 0 offset:20 ; 4-byte Folded Spill
	v_mul_f32_e32 v16, v15, v31
	v_fmac_f32_e32 v16, v14, v30
	v_mul_f32_e32 v14, v14, v31
	v_fma_f32 v17, v15, v30, -v14
	v_mov_b32_e32 v14, s6
	v_addc_co_u32_e32 v1, vcc, v1, v14, vcc
	global_load_dwordx2 v[30:31], v[0:1], off
	global_load_dwordx2 v[32:33], v[2:3], off offset:2424
	s_waitcnt vmcnt(0)
	buffer_store_dword v32, off, s[24:27], 0 offset:8 ; 4-byte Folded Spill
	s_nop 0
	buffer_store_dword v33, off, s[24:27], 0 offset:12 ; 4-byte Folded Spill
	v_mul_f32_e32 v14, v31, v33
	v_fmac_f32_e32 v14, v30, v32
	v_mul_f32_e32 v15, v30, v33
	v_add_co_u32_e32 v30, vcc, s7, v0
	v_mov_b32_e32 v0, s6
	v_fma_f32 v15, v31, v32, -v15
	v_addc_co_u32_e32 v31, vcc, v1, v0, vcc
	global_load_dwordx2 v[32:33], v[30:31], off
	global_load_dwordx2 v[35:36], v[224:225], off offset:1568
	s_waitcnt vmcnt(0)
	buffer_store_dword v35, off, s[24:27], 0 ; 4-byte Folded Spill
	s_nop 0
	buffer_store_dword v36, off, s[24:27], 0 offset:4 ; 4-byte Folded Spill
	v_add_co_u32_e32 v162, vcc, s14, v138
	v_mad_u64_u32 v[30:31], s[14:15], s4, v34, v[30:31]
	s_movk_i32 s4, 0x2a3
	v_add_co_u32_e32 v207, vcc, s4, v138
	v_add_u32_e32 v31, s5, v31
	s_movk_i32 s4, 0x438
	v_mul_f32_e32 v0, v33, v36
	v_mul_f32_e32 v1, v32, v36
	v_fmac_f32_e32 v0, v32, v35
	v_fma_f32 v1, v33, v35, -v1
	global_load_dwordx2 v[32:33], v[30:31], off
	global_load_dwordx2 v[35:36], v80, s[8:9] offset:2160
	s_waitcnt vmcnt(0)
	buffer_store_dword v35, off, s[24:27], 0 offset:72 ; 4-byte Folded Spill
	s_nop 0
	buffer_store_dword v36, off, s[24:27], 0 offset:76 ; 4-byte Folded Spill
	v_add_co_u32_e32 v30, vcc, s7, v30
	v_mul_f32_e32 v34, v33, v36
	v_fmac_f32_e32 v34, v32, v35
	v_mul_f32_e32 v32, v32, v36
	v_fma_f32 v35, v33, v35, -v32
	v_mov_b32_e32 v32, s6
	ds_write_b64 v80, v[34:35] offset:2160
	v_addc_co_u32_e32 v31, vcc, v31, v32, vcc
	global_load_dwordx2 v[32:33], v[30:31], off
	global_load_dwordx2 v[34:35], v[12:13], off offset:1304
	s_waitcnt vmcnt(0)
	buffer_store_dword v34, off, s[24:27], 0 offset:168 ; 4-byte Folded Spill
	s_nop 0
	buffer_store_dword v35, off, s[24:27], 0 offset:172 ; 4-byte Folded Spill
	v_add_co_u32_e32 v247, vcc, s4, v138
	s_movk_i32 s4, 0xcd
	v_mul_f32_e32 v12, v33, v35
	v_mul_f32_e32 v13, v32, v35
	v_fmac_f32_e32 v12, v32, v34
	v_fma_f32 v13, v33, v34, -v13
	v_add_u32_e32 v32, 0x1000, v80
	ds_write2_b64 v32, v[28:29], v[12:13] offset0:28 offset1:163
	v_add_co_u32_e32 v12, vcc, s7, v30
	v_mov_b32_e32 v13, s6
	v_addc_co_u32_e32 v13, vcc, v31, v13, vcc
	v_mov_b32_e32 v226, v32
	global_load_dwordx2 v[28:29], v[12:13], off
	global_load_dwordx2 v[31:32], v[10:11], off offset:448
	s_waitcnt vmcnt(0)
	buffer_store_dword v31, off, s[24:27], 0 offset:112 ; 4-byte Folded Spill
	s_nop 0
	buffer_store_dword v32, off, s[24:27], 0 offset:116 ; 4-byte Folded Spill
	v_add_co_u32_e32 v12, vcc, s7, v12
	v_mul_f32_e32 v30, v29, v32
	v_fmac_f32_e32 v30, v28, v31
	v_mul_f32_e32 v28, v28, v32
	v_fma_f32 v31, v29, v31, -v28
	v_add_u32_e32 v28, 0x1c00, v80
	ds_write2_b64 v28, v[26:27], v[30:31] offset0:49 offset1:184
	v_mov_b32_e32 v26, s6
	v_addc_co_u32_e32 v13, vcc, v13, v26, vcc
	global_load_dwordx2 v[26:27], v[12:13], off
	global_load_dwordx2 v[28:29], v[10:11], off offset:3688
	s_waitcnt vmcnt(0)
	buffer_store_dword v28, off, s[24:27], 0 offset:152 ; 4-byte Folded Spill
	s_nop 0
	buffer_store_dword v29, off, s[24:27], 0 offset:156 ; 4-byte Folded Spill
	v_mul_f32_e32 v10, v27, v29
	v_mul_f32_e32 v11, v26, v29
	v_fmac_f32_e32 v10, v26, v28
	v_fma_f32 v11, v27, v28, -v11
	v_add_u32_e32 v26, 0x2800, v80
	ds_write2_b64 v26, v[24:25], v[10:11] offset0:70 offset1:205
	v_add_co_u32_e32 v10, vcc, s7, v12
	v_mov_b32_e32 v11, s6
	v_addc_co_u32_e32 v11, vcc, v13, v11, vcc
	global_load_dwordx2 v[12:13], v[10:11], off
	global_load_dwordx2 v[24:25], v[8:9], off offset:2832
	s_waitcnt vmcnt(0)
	buffer_store_dword v24, off, s[24:27], 0 offset:160 ; 4-byte Folded Spill
	s_nop 0
	buffer_store_dword v25, off, s[24:27], 0 offset:164 ; 4-byte Folded Spill
	v_mov_b32_e32 v176, v26
	v_mov_b32_e32 v246, v176
	v_mul_f32_e32 v8, v13, v25
	v_mul_f32_e32 v9, v12, v25
	v_fmac_f32_e32 v8, v12, v24
	v_fma_f32 v9, v13, v24, -v9
	v_add_u32_e32 v12, 0x3400, v80
	ds_write2_b64 v12, v[22:23], v[8:9] offset0:91 offset1:226
	v_add_co_u32_e32 v8, vcc, s7, v10
	v_mov_b32_e32 v9, s6
	v_addc_co_u32_e32 v9, vcc, v11, v9, vcc
	global_load_dwordx2 v[10:11], v[8:9], off
	global_load_dwordx2 v[12:13], v[6:7], off offset:1976
	s_waitcnt vmcnt(0)
	buffer_store_dword v12, off, s[24:27], 0 offset:184 ; 4-byte Folded Spill
	s_nop 0
	buffer_store_dword v13, off, s[24:27], 0 offset:188 ; 4-byte Folded Spill
	v_mul_f32_e32 v6, v11, v13
	v_mul_f32_e32 v7, v10, v13
	v_fmac_f32_e32 v6, v10, v12
	v_fma_f32 v7, v11, v12, -v7
	v_add_u32_e32 v10, 0x4000, v80
	ds_write2_b64 v10, v[20:21], v[6:7] offset0:112 offset1:247
	v_add_co_u32_e32 v6, vcc, s7, v8
	v_mov_b32_e32 v7, s6
	v_addc_co_u32_e32 v7, vcc, v9, v7, vcc
	v_mov_b32_e32 v24, v10
	global_load_dwordx2 v[8:9], v[6:7], off
	global_load_dwordx2 v[10:11], v[4:5], off offset:1120
	s_waitcnt vmcnt(0)
	buffer_store_dword v10, off, s[24:27], 0 offset:192 ; 4-byte Folded Spill
	s_nop 0
	buffer_store_dword v11, off, s[24:27], 0 offset:196 ; 4-byte Folded Spill
	v_mov_b32_e32 v81, v24
	v_mul_f32_e32 v4, v9, v11
	v_mul_f32_e32 v5, v8, v11
	v_fmac_f32_e32 v4, v8, v10
	v_fma_f32 v5, v9, v10, -v5
	v_add_u32_e32 v8, 0x5000, v80
	ds_write2_b64 v8, v[18:19], v[4:5] offset0:5 offset1:140
	v_add_co_u32_e32 v4, vcc, s7, v6
	v_mov_b32_e32 v5, s6
	v_addc_co_u32_e32 v5, vcc, v7, v5, vcc
	global_load_dwordx2 v[6:7], v[4:5], off
	global_load_dwordx2 v[9:10], v[2:3], off offset:264
	s_waitcnt vmcnt(0)
	buffer_store_dword v9, off, s[24:27], 0 offset:128 ; 4-byte Folded Spill
	s_nop 0
	buffer_store_dword v10, off, s[24:27], 0 offset:132 ; 4-byte Folded Spill
	v_add_co_u32_e32 v4, vcc, s7, v4
	v_mul_f32_e32 v8, v7, v10
	v_fmac_f32_e32 v8, v6, v9
	v_mul_f32_e32 v6, v6, v10
	v_fma_f32 v9, v7, v9, -v6
	v_add_u32_e32 v6, 0x5c00, v80
	ds_write2_b64 v6, v[16:17], v[8:9] offset0:26 offset1:161
	v_mov_b32_e32 v10, v6
	v_mov_b32_e32 v6, s6
	v_addc_co_u32_e32 v5, vcc, v5, v6, vcc
	global_load_dwordx2 v[6:7], v[4:5], off
	global_load_dwordx2 v[8:9], v[2:3], off offset:3504
	s_waitcnt vmcnt(0)
	buffer_store_dword v8, off, s[24:27], 0 offset:176 ; 4-byte Folded Spill
	s_nop 0
	buffer_store_dword v9, off, s[24:27], 0 offset:180 ; 4-byte Folded Spill
	v_mov_b32_e32 v212, v10
	v_mul_f32_e32 v2, v7, v9
	v_mul_f32_e32 v3, v6, v9
	v_fmac_f32_e32 v2, v6, v8
	v_fma_f32 v3, v7, v8, -v3
	v_add_u32_e32 v6, 0x6800, v80
	ds_write2_b64 v6, v[14:15], v[2:3] offset0:47 offset1:182
	v_add_co_u32_e32 v2, vcc, s7, v4
	v_mov_b32_e32 v3, s6
	v_addc_co_u32_e32 v3, vcc, v5, v3, vcc
	global_load_dwordx2 v[4:5], v[2:3], off
	global_load_dwordx2 v[6:7], v[224:225], off offset:2648
	s_waitcnt vmcnt(0)
	buffer_store_dword v6, off, s[24:27], 0 offset:240 ; 4-byte Folded Spill
	s_nop 0
	buffer_store_dword v7, off, s[24:27], 0 offset:244 ; 4-byte Folded Spill
                                        ; kill: killed $vgpr2 killed $vgpr3
	v_mul_f32_e32 v2, v5, v7
	v_mul_f32_e32 v3, v4, v7
	v_fmac_f32_e32 v2, v4, v6
	v_fma_f32 v3, v5, v6, -v3
	ds_write2_b64 v245, v[0:1], v[2:3] offset0:68 offset1:203
	v_add_u32_e32 v0, 0x800, v80
	s_waitcnt vmcnt(0) lgkmcnt(0)
	s_barrier
	ds_read2_b64 v[12:15], v0 offset0:14 offset1:149
	v_mov_b32_e32 v237, v0
	v_add_u32_e32 v0, 0x1800, v80
	ds_read2_b64 v[52:55], v0 offset0:42 offset1:177
	v_mov_b32_e32 v183, v0
	v_add_u32_e32 v0, 0x2000, v80
	;; [unrolled: 3-line block ×6, first 2 shown]
	ds_read2_b64 v[16:19], v80 offset1:135
	ds_read2_b64 v[56:59], v0 offset0:12 offset1:147
	v_mov_b32_e32 v177, v0
	v_add_u32_e32 v0, 0x6400, v80
	ds_read2_b64 v[48:51], v0 offset0:40 offset1:175
	s_waitcnt lgkmcnt(3)
	v_add_f32_e32 v1, v72, v44
	s_waitcnt lgkmcnt(2)
	v_fma_f32 v1, -0.5, v1, v16
	v_mov_b32_e32 v3, v1
	v_sub_f32_e32 v4, v73, v45
	s_waitcnt lgkmcnt(0)
	v_sub_f32_e32 v2, v53, v49
	v_fmac_f32_e32 v3, 0x3f737871, v2
	v_sub_f32_e32 v5, v52, v72
	v_sub_f32_e32 v6, v48, v44
	v_fmac_f32_e32 v1, 0xbf737871, v2
	v_fmac_f32_e32 v3, 0x3f167918, v4
	v_add_f32_e32 v5, v5, v6
	v_fmac_f32_e32 v1, 0xbf167918, v4
	v_fmac_f32_e32 v3, 0x3e9e377a, v5
	;; [unrolled: 1-line block ×3, first 2 shown]
	v_add_f32_e32 v5, v52, v48
	v_fma_f32 v7, -0.5, v5, v16
	v_mov_b32_e32 v9, v7
	v_fmac_f32_e32 v9, 0xbf737871, v4
	v_fmac_f32_e32 v7, 0x3f737871, v4
	v_fmac_f32_e32 v9, 0x3f167918, v2
	v_fmac_f32_e32 v7, 0xbf167918, v2
	v_add_f32_e32 v2, v17, v53
	v_mov_b32_e32 v178, v0
	v_add_u32_e32 v0, 0x6c00, v80
	v_add_f32_e32 v2, v2, v73
	ds_read2_b64 v[60:63], v0 offset0:54 offset1:189
	v_mov_b32_e32 v182, v0
	v_add_f32_e32 v0, v16, v52
	v_add_f32_e32 v2, v2, v45
	;; [unrolled: 1-line block ×6, first 2 shown]
	v_sub_f32_e32 v5, v72, v52
	v_sub_f32_e32 v6, v44, v48
	v_fma_f32 v76, -0.5, v2, v17
	v_add_f32_e32 v0, v0, v48
	v_add_f32_e32 v5, v5, v6
	v_sub_f32_e32 v2, v52, v48
	v_mov_b32_e32 v48, v76
	v_fmac_f32_e32 v9, 0x3e9e377a, v5
	v_fmac_f32_e32 v7, 0x3e9e377a, v5
	v_fmac_f32_e32 v48, 0xbf737871, v2
	v_sub_f32_e32 v4, v72, v44
	v_sub_f32_e32 v5, v53, v73
	;; [unrolled: 1-line block ×3, first 2 shown]
	v_fmac_f32_e32 v76, 0x3f737871, v2
	v_fmac_f32_e32 v48, 0xbf167918, v4
	v_add_f32_e32 v5, v5, v6
	v_fmac_f32_e32 v76, 0x3f167918, v4
	v_fmac_f32_e32 v48, 0x3e9e377a, v5
	;; [unrolled: 1-line block ×3, first 2 shown]
	v_add_f32_e32 v5, v53, v49
	v_fma_f32 v44, -0.5, v5, v17
	v_mov_b32_e32 v52, v44
	v_fmac_f32_e32 v52, 0x3f737871, v4
	v_sub_f32_e32 v5, v73, v53
	v_sub_f32_e32 v6, v45, v49
	v_fmac_f32_e32 v44, 0xbf737871, v4
	v_fmac_f32_e32 v52, 0xbf167918, v2
	v_add_f32_e32 v5, v5, v6
	v_fmac_f32_e32 v44, 0x3f167918, v2
	v_add_f32_e32 v4, v70, v58
	v_fmac_f32_e32 v52, 0x3e9e377a, v5
	v_fmac_f32_e32 v44, 0x3e9e377a, v5
	v_fma_f32 v5, -0.5, v4, v14
	s_waitcnt lgkmcnt(0)
	v_sub_f32_e32 v4, v67, v63
	v_mov_b32_e32 v6, v5
	ds_read2_b64 v[20:23], v226 offset0:28 offset1:163
	ds_read2_b64 v[36:39], v26 offset0:70 offset1:205
	;; [unrolled: 1-line block ×4, first 2 shown]
	v_fmac_f32_e32 v6, 0x3f737871, v4
	v_sub_f32_e32 v8, v71, v59
	v_sub_f32_e32 v10, v66, v70
	;; [unrolled: 1-line block ×3, first 2 shown]
	v_fmac_f32_e32 v5, 0xbf737871, v4
	v_fmac_f32_e32 v6, 0x3f167918, v8
	v_add_f32_e32 v10, v10, v16
	v_fmac_f32_e32 v5, 0xbf167918, v8
	v_fmac_f32_e32 v6, 0x3e9e377a, v10
	;; [unrolled: 1-line block ×3, first 2 shown]
	v_add_f32_e32 v10, v66, v62
	v_fma_f32 v10, -0.5, v10, v14
	v_mov_b32_e32 v17, v10
	v_fmac_f32_e32 v17, 0xbf737871, v8
	v_fmac_f32_e32 v10, 0x3f737871, v8
	v_fmac_f32_e32 v17, 0x3f167918, v4
	v_fmac_f32_e32 v10, 0xbf167918, v4
	v_add_f32_e32 v4, v15, v67
	v_add_f32_e32 v4, v4, v71
	;; [unrolled: 1-line block ×6, first 2 shown]
	v_sub_f32_e32 v14, v70, v66
	v_sub_f32_e32 v16, v58, v62
	v_fma_f32 v8, -0.5, v4, v15
	v_add_f32_e32 v14, v14, v16
	v_sub_f32_e32 v4, v66, v62
	v_mov_b32_e32 v35, v8
	v_fmac_f32_e32 v17, 0x3e9e377a, v14
	v_fmac_f32_e32 v10, 0x3e9e377a, v14
	v_fmac_f32_e32 v35, 0xbf737871, v4
	v_sub_f32_e32 v14, v70, v58
	v_sub_f32_e32 v16, v67, v71
	;; [unrolled: 1-line block ×3, first 2 shown]
	v_fmac_f32_e32 v8, 0x3f737871, v4
	v_fmac_f32_e32 v35, 0xbf167918, v14
	v_add_f32_e32 v16, v16, v32
	v_fmac_f32_e32 v8, 0x3f167918, v14
	v_fmac_f32_e32 v35, 0x3e9e377a, v16
	;; [unrolled: 1-line block ×3, first 2 shown]
	v_add_f32_e32 v16, v67, v63
	v_fma_f32 v49, -0.5, v16, v15
	v_mov_b32_e32 v15, v49
	v_sub_f32_e32 v16, v71, v67
	v_sub_f32_e32 v32, v59, v63
	v_fmac_f32_e32 v49, 0xbf737871, v14
	v_add_f32_e32 v2, v2, v70
	v_fmac_f32_e32 v15, 0x3f737871, v14
	v_add_f32_e32 v16, v16, v32
	;; [unrolled: 2-line block ×3, first 2 shown]
	v_fmac_f32_e32 v15, 0xbf167918, v4
	v_fmac_f32_e32 v49, 0x3e9e377a, v16
	v_mul_f32_e32 v59, 0xbe9e377a, v10
	v_add_f32_e32 v2, v2, v62
	v_fmac_f32_e32 v15, 0x3e9e377a, v16
	v_fmac_f32_e32 v59, 0x3f737871, v49
	v_mul_f32_e32 v62, 0xbf4f1bbd, v5
	v_mul_f32_e32 v49, 0xbe9e377a, v49
	;; [unrolled: 1-line block ×3, first 2 shown]
	v_fmac_f32_e32 v62, 0x3f167918, v8
	v_fmac_f32_e32 v49, 0xbf737871, v10
	v_add_f32_e32 v32, v0, v2
	v_mul_f32_e32 v53, 0x3f4f1bbd, v6
	v_fmac_f32_e32 v58, 0x3e9e377a, v17
	v_add_f32_e32 v4, v1, v62
	v_mul_f32_e32 v63, 0xbf167918, v6
	v_mul_f32_e32 v66, 0xbf737871, v17
	v_add_f32_e32 v17, v44, v49
	v_sub_f32_e32 v6, v0, v2
	v_sub_f32_e32 v2, v1, v62
	;; [unrolled: 1-line block ×3, first 2 shown]
	v_add_f32_e32 v44, v18, v54
	v_add_f32_e32 v44, v44, v74
	v_fmac_f32_e32 v63, 0x3f4f1bbd, v35
	v_add_f32_e32 v44, v44, v46
	v_fmac_f32_e32 v53, 0x3f167918, v35
	v_add_f32_e32 v14, v9, v58
	v_add_f32_e32 v35, v48, v63
	v_sub_f32_e32 v10, v9, v58
	v_sub_f32_e32 v9, v48, v63
	v_add_f32_e32 v48, v44, v50
	v_add_f32_e32 v44, v74, v46
	v_fma_f32 v49, -0.5, v44, v18
	v_fmac_f32_e32 v66, 0x3e9e377a, v15
	v_sub_f32_e32 v44, v55, v51
	v_mov_b32_e32 v58, v49
	v_add_f32_e32 v34, v3, v53
	v_add_f32_e32 v16, v7, v59
	;; [unrolled: 1-line block ×4, first 2 shown]
	v_mul_f32_e32 v67, 0xbf4f1bbd, v8
	v_sub_f32_e32 v8, v3, v53
	v_sub_f32_e32 v0, v7, v59
	;; [unrolled: 1-line block ×4, first 2 shown]
	v_fmac_f32_e32 v58, 0x3f737871, v44
	v_sub_f32_e32 v45, v75, v47
	v_sub_f32_e32 v52, v54, v74
	;; [unrolled: 1-line block ×3, first 2 shown]
	v_fmac_f32_e32 v49, 0xbf737871, v44
	v_fmac_f32_e32 v58, 0x3f167918, v45
	v_add_f32_e32 v52, v52, v53
	v_fmac_f32_e32 v49, 0xbf167918, v45
	v_fmac_f32_e32 v58, 0x3e9e377a, v52
	;; [unrolled: 1-line block ×3, first 2 shown]
	v_add_f32_e32 v52, v54, v50
	v_fma_f32 v18, -0.5, v52, v18
	v_mov_b32_e32 v59, v18
	v_fmac_f32_e32 v59, 0xbf737871, v45
	v_fmac_f32_e32 v18, 0x3f737871, v45
	;; [unrolled: 1-line block ×4, first 2 shown]
	v_add_f32_e32 v44, v19, v55
	v_add_f32_e32 v44, v44, v75
	;; [unrolled: 1-line block ×5, first 2 shown]
	v_fma_f32 v63, -0.5, v44, v19
	v_sub_f32_e32 v44, v54, v50
	v_mov_b32_e32 v66, v63
	v_sub_f32_e32 v53, v46, v50
	v_fmac_f32_e32 v66, 0xbf737871, v44
	v_sub_f32_e32 v45, v74, v46
	v_sub_f32_e32 v46, v55, v75
	;; [unrolled: 1-line block ×3, first 2 shown]
	v_fmac_f32_e32 v63, 0x3f737871, v44
	v_fmac_f32_e32 v66, 0xbf167918, v45
	v_add_f32_e32 v46, v46, v50
	v_fmac_f32_e32 v63, 0x3f167918, v45
	v_fmac_f32_e32 v66, 0x3e9e377a, v46
	;; [unrolled: 1-line block ×3, first 2 shown]
	v_add_f32_e32 v46, v55, v51
	v_fmac_f32_e32 v67, 0xbf167918, v5
	v_fmac_f32_e32 v19, -0.5, v46
	ds_read2_b64 v[28:31], v245 offset0:68 offset1:203
	v_add_f32_e32 v5, v76, v67
	v_sub_f32_e32 v3, v76, v67
	v_mov_b32_e32 v67, v19
	v_fmac_f32_e32 v67, 0x3f737871, v45
	v_fmac_f32_e32 v19, 0xbf737871, v45
	;; [unrolled: 1-line block ×4, first 2 shown]
	s_waitcnt lgkmcnt(3)
	v_add_f32_e32 v44, v20, v36
	v_sub_f32_e32 v46, v75, v55
	v_sub_f32_e32 v47, v47, v51
	s_waitcnt lgkmcnt(2)
	v_add_f32_e32 v44, v44, v40
	v_add_f32_e32 v46, v46, v47
	s_waitcnt lgkmcnt(1)
	v_add_f32_e32 v44, v44, v24
	v_fmac_f32_e32 v67, 0x3e9e377a, v46
	v_fmac_f32_e32 v19, 0x3e9e377a, v46
	s_waitcnt lgkmcnt(0)
	v_add_f32_e32 v46, v44, v28
	v_add_f32_e32 v44, v40, v24
	v_sub_f32_e32 v52, v74, v54
	v_fma_f32 v45, -0.5, v44, v20
	v_add_f32_e32 v52, v52, v53
	v_sub_f32_e32 v44, v37, v29
	v_mov_b32_e32 v47, v45
	v_fmac_f32_e32 v59, 0x3e9e377a, v52
	v_fmac_f32_e32 v18, 0x3e9e377a, v52
	;; [unrolled: 1-line block ×3, first 2 shown]
	v_sub_f32_e32 v50, v41, v25
	v_sub_f32_e32 v51, v36, v40
	v_sub_f32_e32 v52, v28, v24
	v_fmac_f32_e32 v45, 0xbf737871, v44
	v_fmac_f32_e32 v47, 0x3f167918, v50
	v_add_f32_e32 v51, v51, v52
	v_fmac_f32_e32 v45, 0xbf167918, v50
	v_fmac_f32_e32 v47, 0x3e9e377a, v51
	;; [unrolled: 1-line block ×3, first 2 shown]
	v_add_f32_e32 v51, v36, v28
	v_fma_f32 v20, -0.5, v51, v20
	v_mov_b32_e32 v51, v20
	v_fmac_f32_e32 v51, 0xbf737871, v50
	v_fmac_f32_e32 v20, 0x3f737871, v50
	;; [unrolled: 1-line block ×4, first 2 shown]
	v_add_f32_e32 v44, v21, v37
	v_add_f32_e32 v44, v44, v41
	;; [unrolled: 1-line block ×5, first 2 shown]
	v_fma_f32 v50, -0.5, v44, v21
	v_sub_f32_e32 v52, v40, v36
	v_sub_f32_e32 v53, v24, v28
	;; [unrolled: 1-line block ×3, first 2 shown]
	v_mov_b32_e32 v36, v50
	v_fmac_f32_e32 v36, 0xbf737871, v28
	v_sub_f32_e32 v24, v40, v24
	v_sub_f32_e32 v40, v37, v41
	;; [unrolled: 1-line block ×3, first 2 shown]
	v_fmac_f32_e32 v50, 0x3f737871, v28
	v_fmac_f32_e32 v36, 0xbf167918, v24
	v_add_f32_e32 v40, v40, v44
	v_fmac_f32_e32 v50, 0x3f167918, v24
	v_fmac_f32_e32 v36, 0x3e9e377a, v40
	;; [unrolled: 1-line block ×3, first 2 shown]
	v_add_f32_e32 v40, v37, v29
	v_fma_f32 v21, -0.5, v40, v21
	v_mov_b32_e32 v40, v21
	v_add_f32_e32 v52, v52, v53
	v_fmac_f32_e32 v40, 0x3f737871, v24
	v_sub_f32_e32 v37, v41, v37
	v_sub_f32_e32 v25, v25, v29
	v_fmac_f32_e32 v21, 0xbf737871, v24
	v_mul_f32_e32 v24, 0x3f4f1bbd, v47
	v_fmac_f32_e32 v51, 0x3e9e377a, v52
	v_fmac_f32_e32 v20, 0x3e9e377a, v52
	;; [unrolled: 1-line block ×3, first 2 shown]
	v_add_f32_e32 v25, v37, v25
	v_fmac_f32_e32 v21, 0x3f167918, v28
	v_fmac_f32_e32 v24, 0x3f167918, v36
	v_mul_f32_e32 v37, 0xbf167918, v47
	v_fmac_f32_e32 v40, 0x3e9e377a, v25
	v_fmac_f32_e32 v21, 0x3e9e377a, v25
	v_add_f32_e32 v70, v48, v46
	v_add_f32_e32 v72, v58, v24
	v_mul_f32_e32 v28, 0xbe9e377a, v20
	v_fmac_f32_e32 v37, 0x3f4f1bbd, v36
	v_mul_f32_e32 v36, 0xbf737871, v51
	v_sub_f32_e32 v46, v48, v46
	v_sub_f32_e32 v48, v58, v24
	v_add_f32_e32 v24, v12, v64
	v_mul_f32_e32 v25, 0x3f737871, v40
	v_fmac_f32_e32 v28, 0x3f737871, v21
	v_fmac_f32_e32 v36, 0x3e9e377a, v40
	v_mul_f32_e32 v21, 0xbe9e377a, v21
	v_mul_f32_e32 v40, 0xbf4f1bbd, v50
	v_add_f32_e32 v24, v24, v68
	v_fmac_f32_e32 v21, 0xbf737871, v20
	v_fmac_f32_e32 v40, 0xbf167918, v45
	v_add_f32_e32 v24, v24, v56
	v_mul_f32_e32 v29, 0xbf4f1bbd, v45
	v_add_f32_e32 v55, v19, v21
	v_add_f32_e32 v45, v63, v40
	v_sub_f32_e32 v19, v19, v21
	v_sub_f32_e32 v21, v63, v40
	v_add_f32_e32 v40, v24, v60
	v_add_f32_e32 v24, v68, v56
	v_fma_f32 v41, -0.5, v24, v12
	v_fmac_f32_e32 v25, 0x3e9e377a, v51
	v_fmac_f32_e32 v29, 0x3f167918, v50
	v_sub_f32_e32 v24, v65, v61
	v_mov_b32_e32 v58, v41
	v_add_f32_e32 v52, v59, v25
	v_add_f32_e32 v54, v18, v28
	;; [unrolled: 1-line block ×3, first 2 shown]
	v_sub_f32_e32 v50, v59, v25
	v_sub_f32_e32 v18, v18, v28
	;; [unrolled: 1-line block ×3, first 2 shown]
	v_fmac_f32_e32 v58, 0x3f737871, v24
	v_sub_f32_e32 v25, v69, v57
	v_sub_f32_e32 v28, v64, v68
	;; [unrolled: 1-line block ×3, first 2 shown]
	v_fmac_f32_e32 v41, 0xbf737871, v24
	v_fmac_f32_e32 v58, 0x3f167918, v25
	v_add_f32_e32 v28, v28, v29
	v_fmac_f32_e32 v41, 0xbf167918, v25
	v_fmac_f32_e32 v58, 0x3e9e377a, v28
	v_fmac_f32_e32 v41, 0x3e9e377a, v28
	v_add_f32_e32 v28, v64, v60
	v_fma_f32 v12, -0.5, v28, v12
	v_mov_b32_e32 v59, v12
	v_fmac_f32_e32 v59, 0xbf737871, v25
	v_fmac_f32_e32 v12, 0x3f737871, v25
	;; [unrolled: 1-line block ×4, first 2 shown]
	v_add_f32_e32 v24, v13, v65
	v_add_f32_e32 v24, v24, v69
	;; [unrolled: 1-line block ×4, first 2 shown]
	v_sub_f32_e32 v47, v62, v74
	v_add_f32_e32 v62, v24, v61
	v_add_f32_e32 v24, v69, v57
	v_sub_f32_e32 v28, v68, v64
	v_sub_f32_e32 v29, v56, v60
	v_fma_f32 v63, -0.5, v24, v13
	v_add_f32_e32 v28, v28, v29
	v_sub_f32_e32 v24, v64, v60
	v_mov_b32_e32 v60, v63
	v_fmac_f32_e32 v59, 0x3e9e377a, v28
	v_fmac_f32_e32 v12, 0x3e9e377a, v28
	;; [unrolled: 1-line block ×3, first 2 shown]
	v_sub_f32_e32 v25, v68, v56
	v_sub_f32_e32 v28, v65, v69
	;; [unrolled: 1-line block ×3, first 2 shown]
	v_fmac_f32_e32 v63, 0x3f737871, v24
	v_fmac_f32_e32 v60, 0xbf167918, v25
	v_add_f32_e32 v28, v28, v29
	v_fmac_f32_e32 v63, 0x3f167918, v25
	v_fmac_f32_e32 v60, 0x3e9e377a, v28
	;; [unrolled: 1-line block ×3, first 2 shown]
	v_add_f32_e32 v28, v65, v61
	v_fmac_f32_e32 v13, -0.5, v28
	v_mov_b32_e32 v64, v13
	v_fmac_f32_e32 v64, 0x3f737871, v25
	v_fmac_f32_e32 v13, 0xbf737871, v25
	;; [unrolled: 1-line block ×4, first 2 shown]
	v_add_f32_e32 v24, v22, v38
	v_add_f32_e32 v24, v24, v42
	;; [unrolled: 1-line block ×6, first 2 shown]
	v_sub_f32_e32 v49, v66, v37
	v_sub_f32_e32 v28, v69, v65
	;; [unrolled: 1-line block ×3, first 2 shown]
	v_fma_f32 v37, -0.5, v24, v22
	v_add_f32_e32 v28, v28, v29
	v_sub_f32_e32 v24, v39, v31
	v_mov_b32_e32 v29, v37
	v_add_f32_e32 v53, v67, v36
	v_sub_f32_e32 v51, v67, v36
	v_fmac_f32_e32 v64, 0x3e9e377a, v28
	v_fmac_f32_e32 v13, 0x3e9e377a, v28
	;; [unrolled: 1-line block ×3, first 2 shown]
	v_sub_f32_e32 v25, v43, v27
	v_sub_f32_e32 v28, v38, v42
	v_sub_f32_e32 v36, v30, v26
	v_fmac_f32_e32 v37, 0xbf737871, v24
	v_fmac_f32_e32 v29, 0x3f167918, v25
	v_add_f32_e32 v28, v28, v36
	v_fmac_f32_e32 v37, 0xbf167918, v25
	v_fmac_f32_e32 v29, 0x3e9e377a, v28
	;; [unrolled: 1-line block ×3, first 2 shown]
	v_add_f32_e32 v28, v38, v30
	v_fma_f32 v22, -0.5, v28, v22
	v_mov_b32_e32 v57, v22
	v_fmac_f32_e32 v57, 0xbf737871, v25
	v_fmac_f32_e32 v22, 0x3f737871, v25
	;; [unrolled: 1-line block ×4, first 2 shown]
	v_add_f32_e32 v24, v23, v39
	v_add_f32_e32 v24, v24, v43
	;; [unrolled: 1-line block ×5, first 2 shown]
	v_sub_f32_e32 v28, v42, v38
	v_sub_f32_e32 v36, v26, v30
	v_fma_f32 v65, -0.5, v24, v23
	v_add_f32_e32 v28, v28, v36
	v_sub_f32_e32 v24, v38, v30
	v_mov_b32_e32 v38, v65
	v_fmac_f32_e32 v57, 0x3e9e377a, v28
	v_fmac_f32_e32 v22, 0x3e9e377a, v28
	;; [unrolled: 1-line block ×3, first 2 shown]
	v_sub_f32_e32 v25, v42, v26
	v_sub_f32_e32 v26, v39, v43
	;; [unrolled: 1-line block ×3, first 2 shown]
	v_fmac_f32_e32 v65, 0x3f737871, v24
	v_fmac_f32_e32 v38, 0xbf167918, v25
	v_add_f32_e32 v26, v26, v28
	v_fmac_f32_e32 v65, 0x3f167918, v25
	v_fmac_f32_e32 v38, 0x3e9e377a, v26
	;; [unrolled: 1-line block ×3, first 2 shown]
	v_add_f32_e32 v26, v39, v31
	v_fmac_f32_e32 v23, -0.5, v26
	v_mov_b32_e32 v42, v23
	v_sub_f32_e32 v26, v43, v39
	v_sub_f32_e32 v27, v27, v31
	v_fmac_f32_e32 v23, 0xbf737871, v25
	v_add_f32_e32 v26, v26, v27
	v_fmac_f32_e32 v23, 0x3f167918, v24
	v_fmac_f32_e32 v23, 0x3e9e377a, v26
	v_mul_f32_e32 v66, 0xbe9e377a, v22
	v_fmac_f32_e32 v42, 0x3f737871, v25
	v_mul_f32_e32 v39, 0x3f4f1bbd, v29
	;; [unrolled: 2-line block ×3, first 2 shown]
	v_fmac_f32_e32 v42, 0xbf167918, v24
	v_add_f32_e32 v24, v40, v56
	v_fmac_f32_e32 v39, 0x3f167918, v38
	v_add_f32_e32 v30, v12, v66
	v_fmac_f32_e32 v68, 0x3f4f1bbd, v38
	v_sub_f32_e32 v38, v40, v56
	v_sub_f32_e32 v40, v12, v66
	v_mul_lo_u16_e32 v12, 10, v138
	v_lshlrev_b32_e32 v12, 3, v12
	s_barrier
	ds_write_b128 v12, v[32:35]
	buffer_store_dword v12, off, s[24:27], 0 offset:484 ; 4-byte Folded Spill
	ds_write_b128 v12, v[14:17] offset:16
	ds_write_b128 v12, v[4:7] offset:32
	;; [unrolled: 1-line block ×4, first 2 shown]
	v_mul_lo_u16_sdwa v12, v138, s4 dst_sel:DWORD dst_unused:UNUSED_PAD src0_sel:BYTE_0 src1_sel:DWORD
	v_lshrrev_b16_e32 v108, 11, v12
	v_fmac_f32_e32 v42, 0x3e9e377a, v26
	v_mul_f32_e32 v23, 0xbe9e377a, v23
	v_mul_u32_u24_e32 v0, 10, v161
	v_mul_lo_u16_e32 v12, 10, v108
	v_mul_f32_e32 v43, 0x3f737871, v42
	v_mul_f32_e32 v67, 0xbf4f1bbd, v37
	;; [unrolled: 1-line block ×3, first 2 shown]
	v_fmac_f32_e32 v23, 0xbf737871, v22
	v_mul_f32_e32 v22, 0xbf4f1bbd, v65
	v_lshlrev_b32_e32 v0, 3, v0
	v_sub_u16_e32 v12, v138, v12
	v_fmac_f32_e32 v43, 0x3e9e377a, v57
	v_fmac_f32_e32 v67, 0x3f167918, v65
	;; [unrolled: 1-line block ×4, first 2 shown]
	ds_write_b128 v0, v[70:73]
	ds_write_b128 v0, v[52:55] offset:16
	ds_write_b128 v0, v[44:47] offset:32
	;; [unrolled: 1-line block ×3, first 2 shown]
	buffer_store_dword v0, off, s[24:27], 0 offset:480 ; 4-byte Folded Spill
	ds_write_b128 v0, v[18:21] offset:64
	v_mul_u32_u24_e32 v0, 10, v162
	v_and_b32_e32 v109, 0xff, v12
	v_add_f32_e32 v26, v58, v39
	v_add_f32_e32 v28, v59, v43
	;; [unrolled: 1-line block ×8, first 2 shown]
	v_sub_f32_e32 v56, v58, v39
	v_sub_f32_e32 v58, v59, v43
	;; [unrolled: 1-line block ×5, first 2 shown]
	v_lshlrev_b32_e32 v0, 3, v0
	v_lshlrev_b32_e32 v12, 5, v109
	v_sub_f32_e32 v42, v41, v67
	v_sub_f32_e32 v41, v13, v23
	;; [unrolled: 1-line block ×3, first 2 shown]
	buffer_store_dword v0, off, s[24:27], 0 offset:428 ; 4-byte Folded Spill
	ds_write_b128 v0, v[24:27]
	ds_write_b128 v0, v[28:31] offset:16
	ds_write_b128 v0, v[36:39] offset:32
	;; [unrolled: 1-line block ×4, first 2 shown]
	s_waitcnt vmcnt(0) lgkmcnt(0)
	s_barrier
	ds_read2_b64 v[8:11], v80 offset1:135
	ds_read2_b64 v[14:17], v183 offset0:42 offset1:177
	ds_read2_b64 v[24:27], v180 offset0:84 offset1:219
	;; [unrolled: 1-line block ×14, first 2 shown]
	global_load_dwordx4 v[20:23], v12, s[10:11] offset:16
	global_load_dwordx4 v[36:39], v12, s[10:11]
	s_waitcnt vmcnt(0)
	buffer_store_dword v36, off, s[24:27], 0 offset:328 ; 4-byte Folded Spill
	s_nop 0
	buffer_store_dword v37, off, s[24:27], 0 offset:332 ; 4-byte Folded Spill
	buffer_store_dword v38, off, s[24:27], 0 offset:336 ; 4-byte Folded Spill
	;; [unrolled: 1-line block ×3, first 2 shown]
	s_mov_b32 s4, 0xcccd
	v_mov_b32_e32 v213, v177
	v_mov_b32_e32 v217, v183
	;; [unrolled: 1-line block ×6, first 2 shown]
	s_waitcnt lgkmcnt(13)
	v_mul_f32_e32 v12, v15, v37
	s_waitcnt lgkmcnt(12)
	v_mul_f32_e32 v13, v25, v39
	v_fma_f32 v18, v14, v36, -v12
	v_mul_f32_e32 v12, v14, v37
	v_fma_f32 v19, v24, v38, -v13
	v_mul_f32_e32 v13, v24, v39
	v_fmac_f32_e32 v12, v15, v36
	v_fmac_f32_e32 v13, v25, v38
	v_mov_b32_e32 v39, v23
	v_mov_b32_e32 v38, v22
	;; [unrolled: 1-line block ×4, first 2 shown]
	buffer_store_dword v36, off, s[24:27], 0 offset:312 ; 4-byte Folded Spill
	s_nop 0
	buffer_store_dword v37, off, s[24:27], 0 offset:316 ; 4-byte Folded Spill
	buffer_store_dword v38, off, s[24:27], 0 offset:320 ; 4-byte Folded Spill
	;; [unrolled: 1-line block ×3, first 2 shown]
	v_mul_u32_u24_sdwa v20, v161, s4 dst_sel:DWORD dst_unused:UNUSED_PAD src0_sel:WORD_0 src1_sel:DWORD
	v_lshrrev_b32_e32 v106, 19, v20
	v_mul_lo_u16_e32 v20, 10, v106
	v_sub_u16_e32 v107, v161, v20
	v_lshlrev_b16_e32 v20, 2, v107
	v_lshlrev_b32_e32 v20, 3, v20
	s_waitcnt lgkmcnt(11)
	v_mul_f32_e32 v14, v29, v37
	s_waitcnt lgkmcnt(10)
	v_mul_f32_e32 v15, v33, v39
	v_fma_f32 v21, v28, v36, -v14
	v_mul_f32_e32 v14, v28, v37
	v_fma_f32 v25, v32, v38, -v15
	v_mul_f32_e32 v15, v32, v39
	v_fmac_f32_e32 v14, v29, v36
	v_fmac_f32_e32 v15, v33, v38
	global_load_dwordx4 v[36:39], v20, s[10:11] offset:16
	global_load_dwordx4 v[40:43], v20, s[10:11]
	s_waitcnt vmcnt(1)
	buffer_store_dword v36, off, s[24:27], 0 offset:344 ; 4-byte Folded Spill
	s_nop 0
	buffer_store_dword v37, off, s[24:27], 0 offset:348 ; 4-byte Folded Spill
	buffer_store_dword v38, off, s[24:27], 0 offset:352 ; 4-byte Folded Spill
	;; [unrolled: 1-line block ×3, first 2 shown]
	s_waitcnt vmcnt(4)
	v_mul_f32_e32 v20, v17, v41
	v_fma_f32 v23, v16, v40, -v20
	v_mul_f32_e32 v16, v16, v41
	v_fmac_f32_e32 v16, v17, v40
	v_mul_f32_e32 v17, v27, v43
	v_fma_f32 v24, v26, v42, -v17
	v_mul_f32_e32 v17, v26, v43
	v_mul_u32_u24_sdwa v26, v162, s4 dst_sel:DWORD dst_unused:UNUSED_PAD src0_sel:WORD_0 src1_sel:DWORD
	v_lshrrev_b32_e32 v104, 19, v26
	v_mul_lo_u16_e32 v26, 10, v104
	v_sub_u16_e32 v105, v162, v26
	v_lshlrev_b16_e32 v26, 2, v105
	v_lshlrev_b32_e32 v26, 3, v26
	global_load_dwordx4 v[52:55], v26, s[10:11] offset:16
	global_load_dwordx4 v[64:67], v26, s[10:11]
	v_fmac_f32_e32 v17, v27, v42
	v_sub_f32_e32 v27, v12, v15
	v_mul_f32_e32 v20, v31, v37
	v_fma_f32 v28, v30, v36, -v20
	v_mul_f32_e32 v20, v30, v37
	v_fmac_f32_e32 v20, v31, v36
	v_mul_f32_e32 v22, v35, v39
	v_fma_f32 v29, v34, v38, -v22
	v_mul_f32_e32 v22, v34, v39
	v_fmac_f32_e32 v22, v35, v38
	v_mov_b32_e32 v38, v179
	v_mov_b32_e32 v39, v178
	;; [unrolled: 1-line block ×4, first 2 shown]
	s_waitcnt vmcnt(1) lgkmcnt(6)
	v_mul_f32_e32 v124, v56, v53
	s_waitcnt vmcnt(0)
	v_mul_f32_e32 v26, v45, v65
	v_fma_f32 v77, v44, v64, -v26
	v_mul_f32_e32 v26, v49, v67
	v_fma_f32 v79, v48, v66, -v26
	;; [unrolled: 2-line block ×3, first 2 shown]
	s_waitcnt lgkmcnt(5)
	v_mul_f32_e32 v26, v61, v55
	v_fma_f32 v83, v60, v54, -v26
	v_mul_u32_u24_sdwa v26, v203, s4 dst_sel:DWORD dst_unused:UNUSED_PAD src0_sel:WORD_0 src1_sel:DWORD
	v_lshrrev_b32_e32 v102, 19, v26
	v_mul_lo_u16_e32 v26, 10, v102
	v_sub_u16_e32 v103, v203, v26
	v_lshlrev_b16_e32 v26, 2, v103
	v_lshlrev_b32_e32 v26, 3, v26
	global_load_dwordx4 v[30:33], v26, s[10:11] offset:16
	s_waitcnt vmcnt(0)
	buffer_store_dword v30, off, s[24:27], 0 offset:548 ; 4-byte Folded Spill
	s_nop 0
	buffer_store_dword v31, off, s[24:27], 0 offset:552 ; 4-byte Folded Spill
	buffer_store_dword v32, off, s[24:27], 0 offset:556 ; 4-byte Folded Spill
	;; [unrolled: 1-line block ×3, first 2 shown]
	global_load_dwordx4 v[68:71], v26, s[10:11]
	v_mul_f32_e32 v44, v44, v65
	v_fmac_f32_e32 v44, v45, v64
	v_mul_f32_e32 v72, v48, v67
	v_fmac_f32_e32 v72, v49, v66
	v_fmac_f32_e32 v124, v57, v52
	v_mul_f32_e32 v125, v60, v55
	v_fmac_f32_e32 v125, v61, v54
	v_mul_f32_e32 v118, v58, v31
	;; [unrolled: 2-line block ×3, first 2 shown]
	v_fmac_f32_e32 v121, v63, v32
	s_waitcnt vmcnt(0)
	v_mul_f32_e32 v26, v47, v69
	v_fma_f32 v45, v46, v68, -v26
	v_mul_f32_e32 v26, v51, v71
	v_fma_f32 v73, v50, v70, -v26
	;; [unrolled: 2-line block ×4, first 2 shown]
	v_mul_u32_u24_sdwa v26, v206, s4 dst_sel:DWORD dst_unused:UNUSED_PAD src0_sel:WORD_0 src1_sel:DWORD
	v_lshrrev_b32_e32 v100, 19, v26
	v_mul_lo_u16_e32 v26, 10, v100
	v_sub_u16_e32 v101, v206, v26
	v_lshlrev_b16_e32 v26, 2, v101
	v_mul_f32_e32 v115, v50, v71
	v_lshlrev_b32_e32 v26, 3, v26
	v_fmac_f32_e32 v115, v51, v70
	global_load_dwordx4 v[48:51], v26, s[10:11] offset:16
	global_load_dwordx4 v[56:59], v26, s[10:11]
	v_mul_f32_e32 v114, v46, v69
	v_fmac_f32_e32 v114, v47, v68
	s_waitcnt vmcnt(1) lgkmcnt(0)
	v_mul_f32_e32 v113, v134, v51
	s_waitcnt vmcnt(0)
	v_mul_f32_e32 v26, v85, v57
	v_fma_f32 v116, v84, v56, -v26
	v_mul_f32_e32 v26, v89, v59
	v_fma_f32 v117, v88, v58, -v26
	;; [unrolled: 2-line block ×4, first 2 shown]
	v_mul_u32_u24_sdwa v26, v207, s4 dst_sel:DWORD dst_unused:UNUSED_PAD src0_sel:WORD_0 src1_sel:DWORD
	v_lshrrev_b32_e32 v98, 19, v26
	v_mul_lo_u16_e32 v26, 10, v98
	v_sub_u16_e32 v99, v207, v26
	v_lshlrev_b16_e32 v26, 2, v99
	v_lshlrev_b32_e32 v26, 3, v26
	global_load_dwordx4 v[30:33], v26, s[10:11] offset:16
	global_load_dwordx4 v[60:63], v26, s[10:11]
	v_fmac_f32_e32 v113, v135, v50
	v_mul_f32_e32 v111, v88, v59
	v_fmac_f32_e32 v111, v89, v58
	v_mul_f32_e32 v110, v84, v57
	v_mul_f32_e32 v112, v92, v49
	v_fmac_f32_e32 v110, v85, v56
	v_fmac_f32_e32 v112, v93, v48
	s_movk_i32 s4, 0x96
	s_waitcnt vmcnt(1)
	v_mul_f32_e32 v130, v94, v31
	s_waitcnt vmcnt(0)
	v_mul_f32_e32 v26, v87, v61
	v_fma_f32 v132, v86, v60, -v26
	v_mul_f32_e32 v26, v91, v63
	v_fma_f32 v133, v90, v62, -v26
	;; [unrolled: 2-line block ×3, first 2 shown]
	v_mul_f32_e32 v26, v137, v33
	v_fmac_f32_e32 v130, v95, v30
	v_fma_f32 v135, v136, v32, -v26
	buffer_store_dword v30, off, s[24:27], 0 offset:404 ; 4-byte Folded Spill
	s_nop 0
	buffer_store_dword v31, off, s[24:27], 0 offset:408 ; 4-byte Folded Spill
	buffer_store_dword v32, off, s[24:27], 0 offset:412 ; 4-byte Folded Spill
	;; [unrolled: 1-line block ×3, first 2 shown]
	v_add_f32_e32 v26, v8, v18
	v_add_f32_e32 v26, v26, v19
	;; [unrolled: 1-line block ×5, first 2 shown]
	v_fma_f32 v26, -0.5, v26, v8
	v_mov_b32_e32 v46, v26
	v_fmac_f32_e32 v46, 0x3f737871, v27
	v_sub_f32_e32 v31, v13, v14
	v_fmac_f32_e32 v26, 0xbf737871, v27
	v_fmac_f32_e32 v46, 0x3f167918, v31
	;; [unrolled: 1-line block ×3, first 2 shown]
	v_mul_f32_e32 v128, v86, v61
	v_fmac_f32_e32 v128, v87, v60
	v_mul_f32_e32 v129, v90, v63
	v_fmac_f32_e32 v129, v91, v62
	s_waitcnt vmcnt(0)
	s_barrier
	v_mul_f32_e32 v131, v136, v33
	v_fmac_f32_e32 v131, v137, v32
	v_sub_f32_e32 v32, v18, v19
	v_sub_f32_e32 v33, v25, v21
	v_add_f32_e32 v32, v32, v33
	v_fmac_f32_e32 v46, 0x3e9e377a, v32
	v_fmac_f32_e32 v26, 0x3e9e377a, v32
	v_add_f32_e32 v32, v18, v25
	v_fma_f32 v86, -0.5, v32, v8
	v_mov_b32_e32 v88, v86
	v_fmac_f32_e32 v88, 0xbf737871, v31
	v_sub_f32_e32 v8, v19, v18
	v_sub_f32_e32 v32, v21, v25
	v_fmac_f32_e32 v86, 0x3f737871, v31
	v_fmac_f32_e32 v88, 0x3f167918, v27
	v_add_f32_e32 v8, v8, v32
	v_fmac_f32_e32 v86, 0xbf167918, v27
	v_fmac_f32_e32 v88, 0x3e9e377a, v8
	v_fmac_f32_e32 v86, 0x3e9e377a, v8
	v_add_f32_e32 v8, v9, v12
	v_add_f32_e32 v8, v8, v13
	;; [unrolled: 1-line block ×5, first 2 shown]
	v_fma_f32 v27, -0.5, v8, v9
	v_sub_f32_e32 v8, v18, v25
	v_mov_b32_e32 v47, v27
	v_fmac_f32_e32 v47, 0xbf737871, v8
	v_sub_f32_e32 v18, v19, v21
	v_sub_f32_e32 v19, v12, v13
	v_sub_f32_e32 v21, v15, v14
	v_fmac_f32_e32 v27, 0x3f737871, v8
	v_fmac_f32_e32 v47, 0xbf167918, v18
	v_add_f32_e32 v19, v19, v21
	v_fmac_f32_e32 v27, 0x3f167918, v18
	v_fmac_f32_e32 v47, 0x3e9e377a, v19
	;; [unrolled: 1-line block ×3, first 2 shown]
	v_add_f32_e32 v19, v12, v15
	v_fma_f32 v87, -0.5, v19, v9
	v_mov_b32_e32 v89, v87
	v_fmac_f32_e32 v89, 0x3f737871, v18
	v_fmac_f32_e32 v87, 0xbf737871, v18
	;; [unrolled: 1-line block ×4, first 2 shown]
	v_add_f32_e32 v8, v10, v23
	v_add_f32_e32 v8, v8, v24
	;; [unrolled: 1-line block ×5, first 2 shown]
	v_sub_f32_e32 v9, v13, v12
	v_sub_f32_e32 v12, v14, v15
	v_fma_f32 v84, -0.5, v8, v10
	v_add_f32_e32 v9, v9, v12
	v_sub_f32_e32 v8, v16, v22
	v_mov_b32_e32 v92, v84
	v_fmac_f32_e32 v89, 0x3e9e377a, v9
	v_fmac_f32_e32 v87, 0x3e9e377a, v9
	;; [unrolled: 1-line block ×3, first 2 shown]
	v_sub_f32_e32 v9, v17, v20
	v_sub_f32_e32 v12, v23, v24
	v_sub_f32_e32 v13, v29, v28
	v_fmac_f32_e32 v84, 0xbf737871, v8
	v_fmac_f32_e32 v92, 0x3f167918, v9
	v_add_f32_e32 v12, v12, v13
	v_fmac_f32_e32 v84, 0xbf167918, v9
	v_fmac_f32_e32 v92, 0x3e9e377a, v12
	;; [unrolled: 1-line block ×3, first 2 shown]
	v_add_f32_e32 v12, v23, v29
	v_fma_f32 v10, -0.5, v12, v10
	v_mov_b32_e32 v94, v10
	v_fmac_f32_e32 v94, 0xbf737871, v9
	v_fmac_f32_e32 v10, 0x3f737871, v9
	;; [unrolled: 1-line block ×4, first 2 shown]
	v_add_f32_e32 v8, v11, v16
	v_add_f32_e32 v8, v8, v17
	;; [unrolled: 1-line block ×5, first 2 shown]
	v_sub_f32_e32 v12, v24, v23
	v_sub_f32_e32 v13, v28, v29
	v_fma_f32 v85, -0.5, v8, v11
	v_add_f32_e32 v12, v12, v13
	v_sub_f32_e32 v8, v23, v29
	v_mov_b32_e32 v93, v85
	v_fmac_f32_e32 v94, 0x3e9e377a, v12
	v_fmac_f32_e32 v10, 0x3e9e377a, v12
	;; [unrolled: 1-line block ×3, first 2 shown]
	v_sub_f32_e32 v9, v24, v28
	v_sub_f32_e32 v12, v16, v17
	v_sub_f32_e32 v13, v22, v20
	v_fmac_f32_e32 v85, 0x3f737871, v8
	v_fmac_f32_e32 v93, 0xbf167918, v9
	v_add_f32_e32 v12, v12, v13
	v_fmac_f32_e32 v85, 0x3f167918, v9
	v_fmac_f32_e32 v93, 0x3e9e377a, v12
	;; [unrolled: 1-line block ×3, first 2 shown]
	v_add_f32_e32 v12, v16, v22
	v_fmac_f32_e32 v11, -0.5, v12
	v_mov_b32_e32 v95, v11
	v_fmac_f32_e32 v95, 0x3f737871, v9
	v_fmac_f32_e32 v11, 0xbf737871, v9
	;; [unrolled: 1-line block ×4, first 2 shown]
	v_add_f32_e32 v8, v4, v77
	v_add_f32_e32 v8, v8, v79
	;; [unrolled: 1-line block ×5, first 2 shown]
	v_sub_f32_e32 v12, v17, v16
	v_sub_f32_e32 v13, v20, v22
	v_fma_f32 v74, -0.5, v8, v4
	v_add_f32_e32 v12, v12, v13
	v_sub_f32_e32 v8, v44, v125
	v_mov_b32_e32 v82, v74
	v_fmac_f32_e32 v95, 0x3e9e377a, v12
	v_fmac_f32_e32 v11, 0x3e9e377a, v12
	;; [unrolled: 1-line block ×3, first 2 shown]
	v_sub_f32_e32 v9, v72, v124
	v_sub_f32_e32 v12, v77, v79
	;; [unrolled: 1-line block ×3, first 2 shown]
	v_fmac_f32_e32 v74, 0xbf737871, v8
	v_fmac_f32_e32 v82, 0x3f167918, v9
	v_add_f32_e32 v12, v12, v13
	v_fmac_f32_e32 v74, 0xbf167918, v9
	v_fmac_f32_e32 v82, 0x3e9e377a, v12
	;; [unrolled: 1-line block ×3, first 2 shown]
	v_add_f32_e32 v12, v77, v83
	v_fma_f32 v76, -0.5, v12, v4
	v_mov_b32_e32 v78, v76
	v_fmac_f32_e32 v78, 0xbf737871, v9
	v_sub_f32_e32 v4, v79, v77
	v_sub_f32_e32 v12, v127, v83
	v_fmac_f32_e32 v76, 0x3f737871, v9
	v_fmac_f32_e32 v78, 0x3f167918, v8
	v_add_f32_e32 v4, v4, v12
	v_fmac_f32_e32 v76, 0xbf167918, v8
	v_fmac_f32_e32 v78, 0x3e9e377a, v4
	;; [unrolled: 1-line block ×3, first 2 shown]
	v_add_f32_e32 v4, v5, v44
	v_add_f32_e32 v4, v4, v72
	;; [unrolled: 1-line block ×5, first 2 shown]
	v_fma_f32 v75, -0.5, v4, v5
	v_sub_f32_e32 v4, v77, v83
	v_mov_b32_e32 v83, v75
	v_fmac_f32_e32 v83, 0xbf737871, v4
	v_sub_f32_e32 v8, v79, v127
	v_sub_f32_e32 v9, v44, v72
	;; [unrolled: 1-line block ×3, first 2 shown]
	v_fmac_f32_e32 v75, 0x3f737871, v4
	v_fmac_f32_e32 v83, 0xbf167918, v8
	v_add_f32_e32 v9, v9, v12
	v_fmac_f32_e32 v75, 0x3f167918, v8
	v_fmac_f32_e32 v83, 0x3e9e377a, v9
	;; [unrolled: 1-line block ×3, first 2 shown]
	v_add_f32_e32 v9, v44, v125
	v_fma_f32 v77, -0.5, v9, v5
	v_mov_b32_e32 v79, v77
	v_fmac_f32_e32 v79, 0x3f737871, v8
	v_fmac_f32_e32 v77, 0xbf737871, v8
	;; [unrolled: 1-line block ×4, first 2 shown]
	v_add_f32_e32 v4, v6, v45
	v_add_f32_e32 v4, v4, v73
	;; [unrolled: 1-line block ×5, first 2 shown]
	v_sub_f32_e32 v5, v72, v44
	v_sub_f32_e32 v9, v124, v125
	v_fma_f32 v24, -0.5, v4, v6
	v_add_f32_e32 v5, v5, v9
	v_sub_f32_e32 v4, v114, v121
	v_mov_b32_e32 v44, v24
	v_fmac_f32_e32 v79, 0x3e9e377a, v5
	v_fmac_f32_e32 v77, 0x3e9e377a, v5
	;; [unrolled: 1-line block ×3, first 2 shown]
	v_sub_f32_e32 v5, v115, v118
	v_sub_f32_e32 v8, v45, v73
	;; [unrolled: 1-line block ×3, first 2 shown]
	v_fmac_f32_e32 v24, 0xbf737871, v4
	v_fmac_f32_e32 v44, 0x3f167918, v5
	v_add_f32_e32 v8, v8, v9
	v_fmac_f32_e32 v24, 0xbf167918, v5
	v_fmac_f32_e32 v44, 0x3e9e377a, v8
	;; [unrolled: 1-line block ×3, first 2 shown]
	v_add_f32_e32 v8, v45, v126
	v_fma_f32 v6, -0.5, v8, v6
	v_mov_b32_e32 v72, v6
	v_fmac_f32_e32 v72, 0xbf737871, v5
	v_fmac_f32_e32 v6, 0x3f737871, v5
	;; [unrolled: 1-line block ×4, first 2 shown]
	v_add_f32_e32 v4, v7, v114
	v_add_f32_e32 v4, v4, v115
	;; [unrolled: 1-line block ×5, first 2 shown]
	v_sub_f32_e32 v8, v73, v45
	v_sub_f32_e32 v9, v123, v126
	v_fma_f32 v25, -0.5, v4, v7
	v_add_f32_e32 v8, v8, v9
	v_sub_f32_e32 v4, v45, v126
	v_mov_b32_e32 v45, v25
	v_fmac_f32_e32 v72, 0x3e9e377a, v8
	v_fmac_f32_e32 v6, 0x3e9e377a, v8
	;; [unrolled: 1-line block ×3, first 2 shown]
	v_sub_f32_e32 v5, v73, v123
	v_sub_f32_e32 v8, v114, v115
	;; [unrolled: 1-line block ×3, first 2 shown]
	v_fmac_f32_e32 v25, 0x3f737871, v4
	v_fmac_f32_e32 v45, 0xbf167918, v5
	v_add_f32_e32 v8, v8, v9
	v_fmac_f32_e32 v25, 0x3f167918, v5
	v_fmac_f32_e32 v45, 0x3e9e377a, v8
	;; [unrolled: 1-line block ×3, first 2 shown]
	v_add_f32_e32 v8, v114, v121
	v_fmac_f32_e32 v7, -0.5, v8
	v_mov_b32_e32 v73, v7
	v_fmac_f32_e32 v73, 0x3f737871, v5
	v_fmac_f32_e32 v7, 0xbf737871, v5
	;; [unrolled: 1-line block ×4, first 2 shown]
	v_add_f32_e32 v4, v0, v116
	v_add_f32_e32 v4, v4, v117
	;; [unrolled: 1-line block ×5, first 2 shown]
	v_sub_f32_e32 v8, v115, v114
	v_sub_f32_e32 v9, v118, v121
	v_fma_f32 v14, -0.5, v4, v0
	v_add_f32_e32 v8, v8, v9
	v_sub_f32_e32 v4, v110, v113
	v_mov_b32_e32 v22, v14
	v_fmac_f32_e32 v73, 0x3e9e377a, v8
	v_fmac_f32_e32 v7, 0x3e9e377a, v8
	;; [unrolled: 1-line block ×3, first 2 shown]
	v_sub_f32_e32 v5, v111, v112
	v_sub_f32_e32 v8, v116, v117
	;; [unrolled: 1-line block ×3, first 2 shown]
	v_fmac_f32_e32 v14, 0xbf737871, v4
	v_fmac_f32_e32 v22, 0x3f167918, v5
	v_add_f32_e32 v8, v8, v9
	v_fmac_f32_e32 v14, 0xbf167918, v5
	v_fmac_f32_e32 v22, 0x3e9e377a, v8
	v_fmac_f32_e32 v14, 0x3e9e377a, v8
	v_add_f32_e32 v8, v116, v122
	v_fma_f32 v16, -0.5, v8, v0
	v_mov_b32_e32 v18, v16
	v_fmac_f32_e32 v18, 0xbf737871, v5
	v_sub_f32_e32 v0, v117, v116
	v_sub_f32_e32 v8, v119, v122
	v_fmac_f32_e32 v16, 0x3f737871, v5
	v_fmac_f32_e32 v18, 0x3f167918, v4
	v_add_f32_e32 v0, v0, v8
	v_fmac_f32_e32 v16, 0xbf167918, v4
	v_fmac_f32_e32 v18, 0x3e9e377a, v0
	;; [unrolled: 1-line block ×3, first 2 shown]
	v_add_f32_e32 v0, v1, v110
	v_add_f32_e32 v0, v0, v111
	;; [unrolled: 1-line block ×5, first 2 shown]
	v_fma_f32 v15, -0.5, v0, v1
	v_sub_f32_e32 v0, v116, v122
	v_mov_b32_e32 v23, v15
	v_fmac_f32_e32 v23, 0xbf737871, v0
	v_sub_f32_e32 v4, v117, v119
	v_sub_f32_e32 v5, v110, v111
	;; [unrolled: 1-line block ×3, first 2 shown]
	v_fmac_f32_e32 v15, 0x3f737871, v0
	v_fmac_f32_e32 v23, 0xbf167918, v4
	v_add_f32_e32 v5, v5, v8
	v_fmac_f32_e32 v15, 0x3f167918, v4
	v_fmac_f32_e32 v23, 0x3e9e377a, v5
	;; [unrolled: 1-line block ×3, first 2 shown]
	v_add_f32_e32 v5, v110, v113
	v_fma_f32 v17, -0.5, v5, v1
	v_mov_b32_e32 v19, v17
	v_fmac_f32_e32 v19, 0x3f737871, v4
	v_fmac_f32_e32 v17, 0xbf737871, v4
	;; [unrolled: 1-line block ×4, first 2 shown]
	v_add_f32_e32 v0, v2, v132
	v_add_f32_e32 v0, v0, v133
	;; [unrolled: 1-line block ×3, first 2 shown]
	v_sub_f32_e32 v1, v111, v110
	v_sub_f32_e32 v5, v112, v113
	v_add_f32_e32 v4, v0, v135
	v_add_f32_e32 v0, v133, v134
	v_add_f32_e32 v1, v1, v5
	v_fma_f32 v0, -0.5, v0, v2
	v_fmac_f32_e32 v19, 0x3e9e377a, v1
	v_fmac_f32_e32 v17, 0x3e9e377a, v1
	v_sub_f32_e32 v1, v128, v131
	v_mov_b32_e32 v8, v0
	v_fmac_f32_e32 v8, 0x3f737871, v1
	v_sub_f32_e32 v5, v129, v130
	v_sub_f32_e32 v9, v132, v133
	;; [unrolled: 1-line block ×3, first 2 shown]
	v_fmac_f32_e32 v0, 0xbf737871, v1
	v_fmac_f32_e32 v8, 0x3f167918, v5
	v_add_f32_e32 v9, v9, v12
	v_fmac_f32_e32 v0, 0xbf167918, v5
	v_fmac_f32_e32 v8, 0x3e9e377a, v9
	;; [unrolled: 1-line block ×3, first 2 shown]
	v_add_f32_e32 v9, v132, v135
	v_fma_f32 v2, -0.5, v9, v2
	v_mov_b32_e32 v12, v2
	v_fmac_f32_e32 v12, 0xbf737871, v5
	v_fmac_f32_e32 v2, 0x3f737871, v5
	;; [unrolled: 1-line block ×4, first 2 shown]
	v_add_f32_e32 v1, v3, v128
	v_add_f32_e32 v1, v1, v129
	;; [unrolled: 1-line block ×3, first 2 shown]
	v_sub_f32_e32 v9, v133, v132
	v_sub_f32_e32 v13, v134, v135
	v_add_f32_e32 v5, v1, v131
	v_add_f32_e32 v1, v129, v130
	;; [unrolled: 1-line block ×3, first 2 shown]
	v_fma_f32 v1, -0.5, v1, v3
	v_fmac_f32_e32 v12, 0x3e9e377a, v9
	v_fmac_f32_e32 v2, 0x3e9e377a, v9
	v_sub_f32_e32 v32, v132, v135
	v_mov_b32_e32 v9, v1
	v_fmac_f32_e32 v9, 0xbf737871, v32
	v_sub_f32_e32 v33, v133, v134
	v_sub_f32_e32 v13, v128, v129
	;; [unrolled: 1-line block ×3, first 2 shown]
	v_fmac_f32_e32 v1, 0x3f737871, v32
	v_fmac_f32_e32 v9, 0xbf167918, v33
	v_add_f32_e32 v13, v13, v34
	v_fmac_f32_e32 v1, 0x3f167918, v33
	v_fmac_f32_e32 v9, 0x3e9e377a, v13
	;; [unrolled: 1-line block ×3, first 2 shown]
	v_add_f32_e32 v13, v128, v131
	v_fmac_f32_e32 v3, -0.5, v13
	v_mov_b32_e32 v13, v3
	v_fmac_f32_e32 v13, 0x3f737871, v33
	v_fmac_f32_e32 v3, 0xbf737871, v33
	;; [unrolled: 1-line block ×4, first 2 shown]
	v_mul_u32_u24_e32 v32, 50, v108
	v_add_lshl_u32 v32, v32, v109, 3
	buffer_store_dword v32, off, s[24:27], 0 offset:420 ; 4-byte Folded Spill
	ds_write2_b64 v32, v[30:31], v[46:47] offset1:10
	ds_write2_b64 v32, v[88:89], v[86:87] offset0:20 offset1:30
	ds_write_b64 v32, v[26:27] offset:320
	v_mad_legacy_u16 v26, v106, 50, v107
	v_lshlrev_b32_e32 v26, 3, v26
	ds_write2_b64 v26, v[90:91], v[92:93] offset1:10
	ds_write2_b64 v26, v[94:95], v[10:11] offset0:20 offset1:30
	v_mad_legacy_u16 v10, v104, 50, v105
	v_lshlrev_b32_e32 v10, 3, v10
	buffer_store_dword v26, off, s[24:27], 0 offset:432 ; 4-byte Folded Spill
	ds_write_b64 v26, v[84:85] offset:320
	ds_write2_b64 v10, v[96:97], v[82:83] offset1:10
	buffer_store_dword v10, off, s[24:27], 0 offset:400 ; 4-byte Folded Spill
	ds_write2_b64 v10, v[78:79], v[76:77] offset0:20 offset1:30
	ds_write_b64 v10, v[74:75] offset:320
	v_mad_legacy_u16 v10, v102, 50, v103
	v_lshlrev_b32_e32 v10, 3, v10
	ds_write2_b64 v10, v[28:29], v[44:45] offset1:10
	ds_write2_b64 v10, v[72:73], v[6:7] offset0:20 offset1:30
	v_mad_legacy_u16 v6, v100, 50, v101
	v_lshlrev_b32_e32 v6, 3, v6
	ds_write_b64 v10, v[24:25] offset:320
	ds_write2_b64 v6, v[20:21], v[22:23] offset1:10
	v_mov_b32_e32 v20, 41
	v_mul_lo_u16_sdwa v20, v138, v20 dst_sel:DWORD dst_unused:UNUSED_PAD src0_sel:BYTE_0 src1_sel:DWORD
	v_lshrrev_b16_e32 v145, 11, v20
	v_mul_lo_u16_e32 v20, 50, v145
	v_sub_f32_e32 v34, v129, v128
	v_sub_f32_e32 v35, v130, v131
	v_sub_u16_e32 v20, v138, v20
	v_add_f32_e32 v34, v34, v35
	buffer_store_dword v10, off, s[24:27], 0 offset:424 ; 4-byte Folded Spill
	buffer_store_dword v6, off, s[24:27], 0 offset:376 ; 4-byte Folded Spill
	ds_write2_b64 v6, v[18:19], v[16:17] offset0:20 offset1:30
	ds_write_b64 v6, v[14:15] offset:320
	v_mad_legacy_u16 v6, v98, 50, v99
	v_and_b32_e32 v146, 0xff, v20
	v_fmac_f32_e32 v13, 0x3e9e377a, v34
	v_fmac_f32_e32 v3, 0x3e9e377a, v34
	v_lshlrev_b32_e32 v6, 3, v6
	v_lshlrev_b32_e32 v20, 4, v146
	ds_write2_b64 v6, v[4:5], v[8:9] offset1:10
	ds_write2_b64 v6, v[12:13], v[2:3] offset0:20 offset1:30
	buffer_store_dword v6, off, s[24:27], 0 offset:396 ; 4-byte Folded Spill
	ds_write_b64 v6, v[0:1] offset:320
	s_waitcnt vmcnt(0) lgkmcnt(0)
	s_barrier
	ds_read2_b64 v[8:11], v80 offset1:135
	ds_read2_b64 v[23:26], v176 offset0:70 offset1:205
	ds_read2_b64 v[27:30], v177 offset0:12 offset1:147
	ds_read2_b64 v[4:7], v237 offset0:14 offset1:149
	ds_read2_b64 v[44:47], v180 offset0:84 offset1:219
	ds_read2_b64 v[72:75], v212 offset0:26 offset1:161
	ds_read2_b64 v[0:3], v226 offset0:28 offset1:163
	ds_read2_b64 v[76:79], v235 offset0:98 offset1:233
	ds_read2_b64 v[83:86], v178 offset0:40 offset1:175
	ds_read2_b64 v[92:95], v183 offset0:42 offset1:177
	ds_read2_b64 v[96:99], v81 offset0:112 offset1:247
	ds_read2_b64 v[100:103], v182 offset0:54 offset1:189
	ds_read2_b64 v[88:91], v236 offset0:56 offset1:191
	ds_read2_b64 v[16:19], v179 offset0:62 offset1:197
	ds_read2_b64 v[12:15], v245 offset0:68 offset1:203
	global_load_dwordx4 v[31:34], v20, s[10:11] offset:320
	s_waitcnt vmcnt(0)
	buffer_store_dword v31, off, s[24:27], 0 offset:248 ; 4-byte Folded Spill
	s_nop 0
	buffer_store_dword v32, off, s[24:27], 0 offset:252 ; 4-byte Folded Spill
	buffer_store_dword v33, off, s[24:27], 0 offset:256 ; 4-byte Folded Spill
	;; [unrolled: 1-line block ×3, first 2 shown]
	v_lshrrev_b16_e32 v123, 1, v162
	v_lshrrev_b16_e32 v124, 1, v203
	;; [unrolled: 1-line block ×7, first 2 shown]
	s_waitcnt lgkmcnt(13)
	v_mul_f32_e32 v22, v23, v32
	v_mul_f32_e32 v20, v24, v32
	v_fmac_f32_e32 v22, v24, v31
	v_lshrrev_b16_e32 v24, 1, v161
	v_mul_u32_u24_e32 v24, 0x147b, v24
	v_lshrrev_b32_e32 v143, 17, v24
	v_mul_lo_u16_e32 v24, 50, v143
	v_sub_u16_e32 v144, v161, v24
	s_waitcnt lgkmcnt(12)
	v_mul_f32_e32 v21, v28, v34
	v_lshlrev_b16_e32 v24, 4, v144
	v_fma_f32 v20, v23, v31, -v20
	v_fma_f32 v21, v27, v33, -v21
	v_mul_f32_e32 v23, v27, v34
	v_add_co_u32_e32 v27, vcc, s10, v24
	v_fmac_f32_e32 v23, v28, v33
	v_addc_co_u32_e32 v28, vcc, 0, v227, vcc
	global_load_dwordx4 v[31:34], v[27:28], off offset:320
	s_waitcnt vmcnt(0)
	buffer_store_dword v31, off, s[24:27], 0 offset:264 ; 4-byte Folded Spill
	s_nop 0
	buffer_store_dword v32, off, s[24:27], 0 offset:268 ; 4-byte Folded Spill
	buffer_store_dword v33, off, s[24:27], 0 offset:272 ; 4-byte Folded Spill
	;; [unrolled: 1-line block ×3, first 2 shown]
	v_mul_u32_u24_e32 v28, 0x147b, v123
	v_lshrrev_b32_e32 v141, 17, v28
	v_mul_lo_u16_e32 v28, 50, v141
	v_sub_u16_e32 v142, v162, v28
	v_lshlrev_b16_e32 v28, 4, v142
	v_add_co_u32_e32 v28, vcc, s10, v28
	v_mul_f32_e32 v24, v26, v32
	v_fma_f32 v24, v25, v31, -v24
	v_mul_f32_e32 v25, v25, v32
	v_fmac_f32_e32 v25, v26, v31
	v_mul_f32_e32 v26, v30, v34
	v_fma_f32 v26, v29, v33, -v26
	v_mul_f32_e32 v27, v29, v34
	v_addc_co_u32_e32 v29, vcc, 0, v227, vcc
	v_fmac_f32_e32 v27, v30, v33
	global_load_dwordx4 v[32:35], v[28:29], off offset:320
	s_waitcnt vmcnt(0)
	buffer_store_dword v32, off, s[24:27], 0 offset:280 ; 4-byte Folded Spill
	s_nop 0
	buffer_store_dword v33, off, s[24:27], 0 offset:284 ; 4-byte Folded Spill
	buffer_store_dword v34, off, s[24:27], 0 offset:288 ; 4-byte Folded Spill
	;; [unrolled: 1-line block ×3, first 2 shown]
	s_waitcnt lgkmcnt(10)
	v_mul_f32_e32 v28, v45, v33
	v_fma_f32 v30, v44, v32, -v28
	v_mul_f32_e32 v31, v44, v33
	s_waitcnt lgkmcnt(9)
	v_mul_f32_e32 v28, v73, v35
	v_fmac_f32_e32 v31, v45, v32
	v_fma_f32 v32, v72, v34, -v28
	v_mul_u32_u24_e32 v28, 0x147b, v124
	v_lshrrev_b32_e32 v139, 17, v28
	v_mul_lo_u16_e32 v28, 50, v139
	v_sub_u16_e32 v140, v203, v28
	v_lshlrev_b16_e32 v28, 4, v140
	v_add_co_u32_e32 v28, vcc, s10, v28
	v_addc_co_u32_e32 v29, vcc, 0, v227, vcc
	global_load_dwordx4 v[104:107], v[28:29], off offset:320
	s_waitcnt vmcnt(0)
	buffer_store_dword v104, off, s[24:27], 0 offset:296 ; 4-byte Folded Spill
	s_nop 0
	buffer_store_dword v105, off, s[24:27], 0 offset:300 ; 4-byte Folded Spill
	buffer_store_dword v106, off, s[24:27], 0 offset:304 ; 4-byte Folded Spill
	;; [unrolled: 1-line block ×3, first 2 shown]
	v_mul_f32_e32 v33, v72, v35
	v_fmac_f32_e32 v33, v73, v34
	v_mul_f32_e32 v28, v47, v105
	v_fma_f32 v34, v46, v104, -v28
	v_mul_f32_e32 v28, v75, v107
	v_fma_f32 v147, v74, v106, -v28
	v_mul_u32_u24_e32 v28, 0x147b, v82
	v_lshrrev_b32_e32 v135, 17, v28
	v_mul_lo_u16_e32 v28, 50, v135
	v_sub_u16_e32 v137, v206, v28
	v_lshlrev_b16_e32 v28, 4, v137
	v_add_co_u32_e32 v28, vcc, s10, v28
	v_mul_f32_e32 v35, v46, v105
	v_addc_co_u32_e32 v29, vcc, 0, v227, vcc
	v_fmac_f32_e32 v35, v47, v104
	global_load_dwordx4 v[44:47], v[28:29], off offset:320
	s_waitcnt vmcnt(0)
	buffer_store_dword v44, off, s[24:27], 0 offset:360 ; 4-byte Folded Spill
	s_nop 0
	buffer_store_dword v45, off, s[24:27], 0 offset:364 ; 4-byte Folded Spill
	buffer_store_dword v46, off, s[24:27], 0 offset:368 ; 4-byte Folded Spill
	;; [unrolled: 1-line block ×3, first 2 shown]
	v_mul_f32_e32 v148, v74, v107
	v_fmac_f32_e32 v148, v75, v106
	s_waitcnt lgkmcnt(7)
	v_mul_f32_e32 v28, v77, v45
	v_fma_f32 v149, v76, v44, -v28
	s_waitcnt lgkmcnt(6)
	v_mul_f32_e32 v28, v84, v47
	v_fma_f32 v151, v83, v46, -v28
	v_mul_f32_e32 v152, v83, v47
	v_lshrrev_b16_e32 v83, 1, v207
	v_mul_u32_u24_e32 v28, 0x147b, v83
	v_lshrrev_b32_e32 v131, 17, v28
	v_mul_lo_u16_e32 v28, 50, v131
	v_sub_u16_e32 v132, v207, v28
	v_lshlrev_b16_e32 v28, 4, v132
	v_add_co_u32_e32 v28, vcc, s10, v28
	v_mul_f32_e32 v150, v76, v45
	v_addc_co_u32_e32 v29, vcc, 0, v227, vcc
	v_fmac_f32_e32 v150, v77, v44
	v_fmac_f32_e32 v152, v84, v46
	global_load_dwordx4 v[44:47], v[28:29], off offset:320
	s_waitcnt vmcnt(0)
	buffer_store_dword v44, off, s[24:27], 0 offset:380 ; 4-byte Folded Spill
	s_nop 0
	buffer_store_dword v45, off, s[24:27], 0 offset:384 ; 4-byte Folded Spill
	buffer_store_dword v46, off, s[24:27], 0 offset:388 ; 4-byte Folded Spill
	buffer_store_dword v47, off, s[24:27], 0 offset:392 ; 4-byte Folded Spill
	v_mul_f32_e32 v28, v79, v45
	v_fma_f32 v153, v78, v44, -v28
	v_mul_f32_e32 v28, v86, v47
	v_fma_f32 v155, v85, v46, -v28
	v_mul_u32_u24_e32 v28, 0x147b, v121
	v_lshrrev_b32_e32 v127, 17, v28
	v_mul_lo_u16_e32 v28, 50, v127
	v_sub_u16_e32 v128, v202, v28
	v_lshlrev_b16_e32 v28, 4, v128
	v_add_co_u32_e32 v28, vcc, s10, v28
	v_addc_co_u32_e32 v29, vcc, 0, v227, vcc
	global_load_dwordx4 v[72:75], v[28:29], off offset:320
	v_mul_f32_e32 v154, v78, v45
	v_fmac_f32_e32 v154, v79, v44
	v_mul_f32_e32 v156, v85, v47
	v_fmac_f32_e32 v156, v86, v46
	s_waitcnt vmcnt(0) lgkmcnt(4)
	v_mul_f32_e32 v28, v97, v73
	v_fma_f32 v157, v96, v72, -v28
	s_waitcnt lgkmcnt(3)
	v_mul_f32_e32 v28, v101, v75
	v_fma_f32 v159, v100, v74, -v28
	v_mul_u32_u24_e32 v28, 0x147b, v122
	v_lshrrev_b32_e32 v129, 17, v28
	v_mul_lo_u16_e32 v28, 50, v129
	v_sub_u16_e32 v130, v205, v28
	v_lshlrev_b16_e32 v28, 4, v130
	v_add_co_u32_e32 v28, vcc, s10, v28
	v_addc_co_u32_e32 v29, vcc, 0, v227, vcc
	global_load_dwordx4 v[76:79], v[28:29], off offset:320
	v_mul_f32_e32 v163, v100, v75
	v_fmac_f32_e32 v163, v101, v74
	v_mul_f32_e32 v158, v96, v73
	v_fmac_f32_e32 v158, v97, v72
	s_waitcnt vmcnt(0)
	v_mul_f32_e32 v28, v99, v77
	v_fma_f32 v164, v98, v76, -v28
	v_mul_f32_e32 v28, v103, v79
	v_fma_f32 v166, v102, v78, -v28
	v_mul_u32_u24_e32 v28, 0x147b, v125
	v_lshrrev_b32_e32 v133, 17, v28
	v_mul_lo_u16_e32 v28, 50, v133
	v_sub_u16_e32 v134, v247, v28
	v_lshlrev_b16_e32 v28, 4, v134
	v_add_co_u32_e32 v28, vcc, s10, v28
	v_addc_co_u32_e32 v29, vcc, 0, v227, vcc
	global_load_dwordx4 v[44:47], v[28:29], off offset:320
	v_mul_f32_e32 v167, v102, v79
	v_fmac_f32_e32 v167, v103, v78
	v_mul_f32_e32 v165, v98, v77
	v_fmac_f32_e32 v165, v99, v76
	s_waitcnt vmcnt(0) lgkmcnt(1)
	v_mul_f32_e32 v28, v17, v45
	v_fma_f32 v168, v16, v44, -v28
	v_mul_f32_e32 v169, v16, v45
	s_waitcnt lgkmcnt(0)
	v_mul_f32_e32 v16, v13, v47
	v_fma_f32 v170, v12, v46, -v16
	v_mul_f32_e32 v171, v12, v47
	v_mul_u32_u24_e32 v12, 0x147b, v126
	v_lshrrev_b32_e32 v136, 17, v12
	v_mul_lo_u16_e32 v12, 50, v136
	v_sub_u16_e32 v138, v204, v12
	v_lshlrev_b16_e32 v12, 4, v138
	v_add_co_u32_e32 v12, vcc, s10, v12
	v_fmac_f32_e32 v171, v13, v46
	v_addc_co_u32_e32 v13, vcc, 0, v227, vcc
	global_load_dwordx4 v[84:87], v[12:13], off offset:320
	v_fmac_f32_e32 v169, v17, v44
	s_waitcnt vmcnt(0)
	s_barrier
	v_mul_f32_e32 v12, v19, v85
	v_fma_f32 v172, v18, v84, -v12
	v_mul_f32_e32 v12, v15, v87
	v_fma_f32 v174, v14, v86, -v12
	v_add_f32_e32 v12, v8, v20
	v_add_f32_e32 v116, v12, v21
	v_add_f32_e32 v12, v20, v21
	v_fma_f32 v114, -0.5, v12, v8
	v_sub_f32_e32 v8, v22, v23
	v_mov_b32_e32 v118, v114
	v_fmac_f32_e32 v118, 0x3f5db3d7, v8
	v_fmac_f32_e32 v114, 0xbf5db3d7, v8
	v_add_f32_e32 v8, v9, v22
	v_add_f32_e32 v117, v8, v23
	v_add_f32_e32 v8, v22, v23
	v_fma_f32 v115, -0.5, v8, v9
	v_sub_f32_e32 v8, v20, v21
	v_mov_b32_e32 v119, v115
	v_fmac_f32_e32 v119, 0xbf5db3d7, v8
	v_fmac_f32_e32 v115, 0x3f5db3d7, v8
	v_add_f32_e32 v8, v10, v24
	v_add_f32_e32 v110, v8, v26
	v_add_f32_e32 v8, v24, v26
	v_fma_f32 v10, -0.5, v8, v10
	v_sub_f32_e32 v8, v25, v27
	v_mov_b32_e32 v112, v10
	v_fmac_f32_e32 v112, 0x3f5db3d7, v8
	v_fmac_f32_e32 v10, 0xbf5db3d7, v8
	v_add_f32_e32 v8, v11, v25
	v_add_f32_e32 v111, v8, v27
	v_add_f32_e32 v8, v25, v27
	v_fmac_f32_e32 v11, -0.5, v8
	v_sub_f32_e32 v8, v24, v26
	v_mov_b32_e32 v113, v11
	v_fmac_f32_e32 v113, 0xbf5db3d7, v8
	v_fmac_f32_e32 v11, 0x3f5db3d7, v8
	v_add_f32_e32 v8, v4, v30
	v_add_f32_e32 v106, v8, v32
	v_add_f32_e32 v8, v30, v32
	v_fma_f32 v104, -0.5, v8, v4
	v_sub_f32_e32 v4, v31, v33
	v_mov_b32_e32 v108, v104
	v_fmac_f32_e32 v108, 0x3f5db3d7, v4
	v_fmac_f32_e32 v104, 0xbf5db3d7, v4
	v_add_f32_e32 v4, v5, v31
	v_add_f32_e32 v107, v4, v33
	v_add_f32_e32 v4, v31, v33
	v_fma_f32 v105, -0.5, v4, v5
	v_sub_f32_e32 v4, v30, v32
	v_mov_b32_e32 v109, v105
	v_fmac_f32_e32 v109, 0xbf5db3d7, v4
	v_fmac_f32_e32 v105, 0x3f5db3d7, v4
	v_add_f32_e32 v4, v6, v34
	v_add_f32_e32 v100, v4, v147
	v_add_f32_e32 v4, v34, v147
	v_fma_f32 v6, -0.5, v4, v6
	v_sub_f32_e32 v4, v35, v148
	v_mov_b32_e32 v102, v6
	v_fmac_f32_e32 v102, 0x3f5db3d7, v4
	v_fmac_f32_e32 v6, 0xbf5db3d7, v4
	v_add_f32_e32 v4, v7, v35
	v_add_f32_e32 v101, v4, v148
	v_add_f32_e32 v4, v35, v148
	v_fmac_f32_e32 v7, -0.5, v4
	v_sub_f32_e32 v4, v34, v147
	v_mov_b32_e32 v103, v7
	v_fmac_f32_e32 v103, 0xbf5db3d7, v4
	v_fmac_f32_e32 v7, 0x3f5db3d7, v4
	;; [unrolled: 32-line block ×3, first 2 shown]
	v_add_f32_e32 v0, v92, v157
	v_add_f32_e32 v22, v0, v159
	v_add_f32_e32 v0, v157, v159
	v_fma_f32 v20, -0.5, v0, v92
	v_sub_f32_e32 v0, v158, v163
	v_mov_b32_e32 v24, v20
	v_fmac_f32_e32 v24, 0x3f5db3d7, v0
	v_fmac_f32_e32 v20, 0xbf5db3d7, v0
	v_add_f32_e32 v0, v93, v158
	v_add_f32_e32 v23, v0, v163
	;; [unrolled: 1-line block ×3, first 2 shown]
	v_fma_f32 v21, -0.5, v0, v93
	v_sub_f32_e32 v0, v157, v159
	v_mov_b32_e32 v25, v21
	v_fmac_f32_e32 v25, 0xbf5db3d7, v0
	v_fmac_f32_e32 v21, 0x3f5db3d7, v0
	v_add_f32_e32 v0, v94, v164
	v_add_f32_e32 v16, v0, v166
	;; [unrolled: 1-line block ×3, first 2 shown]
	v_fma_f32 v94, -0.5, v0, v94
	v_mul_f32_e32 v173, v18, v85
	v_sub_f32_e32 v0, v165, v167
	v_mov_b32_e32 v18, v94
	v_fmac_f32_e32 v18, 0x3f5db3d7, v0
	v_fmac_f32_e32 v94, 0xbf5db3d7, v0
	v_add_f32_e32 v0, v95, v165
	v_add_f32_e32 v17, v0, v167
	;; [unrolled: 1-line block ×3, first 2 shown]
	v_fmac_f32_e32 v95, -0.5, v0
	v_fmac_f32_e32 v173, v19, v84
	v_sub_f32_e32 v0, v164, v166
	v_mov_b32_e32 v19, v95
	v_fmac_f32_e32 v19, 0xbf5db3d7, v0
	v_fmac_f32_e32 v95, 0x3f5db3d7, v0
	v_add_f32_e32 v0, v88, v168
	v_add_f32_e32 v12, v0, v170
	;; [unrolled: 1-line block ×3, first 2 shown]
	v_fma_f32 v8, -0.5, v0, v88
	v_mul_f32_e32 v175, v14, v87
	v_sub_f32_e32 v0, v169, v171
	v_mov_b32_e32 v14, v8
	v_fmac_f32_e32 v14, 0x3f5db3d7, v0
	v_fmac_f32_e32 v8, 0xbf5db3d7, v0
	v_add_f32_e32 v0, v89, v169
	v_add_f32_e32 v13, v0, v171
	;; [unrolled: 1-line block ×3, first 2 shown]
	v_fma_f32 v9, -0.5, v0, v89
	v_fmac_f32_e32 v175, v15, v86
	v_sub_f32_e32 v0, v168, v170
	v_mov_b32_e32 v15, v9
	v_add_f32_e32 v1, v172, v174
	v_fmac_f32_e32 v15, 0xbf5db3d7, v0
	v_fmac_f32_e32 v9, 0x3f5db3d7, v0
	v_add_f32_e32 v0, v90, v172
	v_fma_f32 v90, -0.5, v1, v90
	v_sub_f32_e32 v1, v173, v175
	v_mov_b32_e32 v4, v90
	v_add_f32_e32 v5, v173, v175
	v_fmac_f32_e32 v4, 0x3f5db3d7, v1
	v_fmac_f32_e32 v90, 0xbf5db3d7, v1
	v_add_f32_e32 v1, v91, v173
	v_fmac_f32_e32 v91, -0.5, v5
	v_sub_f32_e32 v32, v172, v174
	v_mov_b32_e32 v5, v91
	v_fmac_f32_e32 v5, 0xbf5db3d7, v32
	v_fmac_f32_e32 v91, 0x3f5db3d7, v32
	v_mul_u32_u24_e32 v32, 0x96, v145
	v_add_lshl_u32 v32, v32, v146, 3
	buffer_store_dword v32, off, s[24:27], 0 offset:436 ; 4-byte Folded Spill
	ds_write2_b64 v32, v[116:117], v[118:119] offset1:50
	ds_write_b64 v32, v[114:115] offset:800
	v_mad_legacy_u16 v32, v143, s4, v144
	v_lshlrev_b32_e32 v32, 3, v32
	buffer_store_dword v32, off, s[24:27], 0 offset:440 ; 4-byte Folded Spill
	ds_write2_b64 v32, v[110:111], v[112:113] offset1:50
	ds_write_b64 v32, v[10:11] offset:800
	v_mad_legacy_u16 v10, v141, s4, v142
	v_lshlrev_b32_e32 v10, 3, v10
	buffer_store_dword v10, off, s[24:27], 0 offset:444 ; 4-byte Folded Spill
	ds_write2_b64 v10, v[106:107], v[108:109] offset1:50
	ds_write_b64 v10, v[104:105] offset:800
	v_mad_legacy_u16 v10, v139, s4, v140
	v_lshlrev_b32_e32 v10, 3, v10
	buffer_store_dword v10, off, s[24:27], 0 offset:448 ; 4-byte Folded Spill
	ds_write2_b64 v10, v[100:101], v[102:103] offset1:50
	ds_write_b64 v10, v[6:7] offset:800
	v_mad_legacy_u16 v6, v135, s4, v137
	v_lshlrev_b32_e32 v6, 3, v6
	buffer_store_dword v6, off, s[24:27], 0 offset:452 ; 4-byte Folded Spill
	ds_write2_b64 v6, v[96:97], v[98:99] offset1:50
	ds_write_b64 v6, v[30:31] offset:800
	v_mad_legacy_u16 v6, v131, s4, v132
	v_lshlrev_b32_e32 v6, 3, v6
	ds_write_b64 v6, v[2:3] offset:800
	v_mad_legacy_u16 v2, v127, s4, v128
	v_lshlrev_b32_e32 v2, 3, v2
	ds_write2_b64 v6, v[26:27], v[28:29] offset1:50
	buffer_store_dword v6, off, s[24:27], 0 offset:476 ; 4-byte Folded Spill
	buffer_store_dword v2, off, s[24:27], 0 offset:472 ; 4-byte Folded Spill
	ds_write2_b64 v2, v[22:23], v[24:25] offset1:50
	ds_write_b64 v2, v[20:21] offset:800
	v_mad_legacy_u16 v2, v129, s4, v130
	v_lshlrev_b32_e32 v2, 3, v2
	buffer_store_dword v2, off, s[24:27], 0 offset:456 ; 4-byte Folded Spill
	ds_write2_b64 v2, v[16:17], v[18:19] offset1:50
	ds_write_b64 v2, v[94:95] offset:800
	v_mad_legacy_u16 v2, v133, s4, v134
	v_lshlrev_b32_e32 v2, 3, v2
	buffer_store_dword v2, off, s[24:27], 0 offset:460 ; 4-byte Folded Spill
	ds_write2_b64 v2, v[12:13], v[14:15] offset1:50
	ds_write_b64 v2, v[8:9] offset:800
	v_mad_legacy_u16 v2, v136, s4, v138
	v_add_f32_e32 v0, v0, v174
	v_add_f32_e32 v1, v1, v175
	v_lshlrev_b32_e32 v2, 3, v2
	v_lshlrev_b32_e32 v163, 4, v211
	buffer_store_dword v2, off, s[24:27], 0 offset:464 ; 4-byte Folded Spill
	ds_write2_b64 v2, v[0:1], v[4:5] offset1:50
	ds_write_b64 v2, v[90:91] offset:800
	s_waitcnt vmcnt(0) lgkmcnt(0)
	s_barrier
	ds_read2_b64 v[132:135], v80 offset1:135
	ds_read2_b64 v[24:27], v176 offset0:70 offset1:205
	ds_read2_b64 v[94:97], v177 offset0:12 offset1:147
	;; [unrolled: 1-line block ×14, first 2 shown]
	global_load_dwordx4 v[88:91], v163, s[10:11] offset:1120
	v_add_co_u32_e32 v31, vcc, s10, v163
	v_addc_co_u32_e32 v228, vcc, 0, v227, vcc
	s_waitcnt vmcnt(0) lgkmcnt(13)
	v_mul_f32_e32 v20, v25, v89
	v_fma_f32 v22, v24, v88, -v20
	s_waitcnt lgkmcnt(12)
	v_mul_f32_e32 v20, v95, v91
	v_fma_f32 v23, v94, v90, -v20
	v_add_co_u32_e32 v20, vcc, -15, v211
	v_addc_co_u32_e64 v21, s[4:5], 0, -1, vcc
	v_cmp_gt_u16_e32 vcc, 15, v211
	v_cndmask_b32_e32 v21, v21, v120, vcc
	v_cndmask_b32_e32 v20, v20, v161, vcc
	v_lshlrev_b64 v[28:29], 4, v[20:21]
	v_mul_f32_e32 v24, v24, v89
	v_add_co_u32_e32 v28, vcc, s10, v28
	v_fmac_f32_e32 v24, v25, v88
	v_mul_f32_e32 v25, v94, v91
	v_addc_co_u32_e32 v29, vcc, v227, v29, vcc
	v_fmac_f32_e32 v25, v95, v90
	global_load_dwordx4 v[92:95], v[28:29], off offset:1120
	s_movk_i32 s4, 0x1c2
	s_movk_i32 s5, 0xffd3
	s_waitcnt vmcnt(0)
	v_mul_f32_e32 v21, v27, v93
	v_fma_f32 v21, v26, v92, -v21
	v_mul_f32_e32 v28, v26, v93
	v_mul_f32_e32 v26, v97, v95
	v_fma_f32 v29, v96, v94, -v26
	v_mul_u32_u24_e32 v26, 0xda75, v123
	v_lshrrev_b32_e32 v175, 22, v26
	v_mul_lo_u16_e32 v26, 0x96, v175
	v_sub_u16_e32 v176, v162, v26
	v_lshlrev_b16_e32 v26, 4, v176
	v_add_co_u32_e32 v26, vcc, s10, v26
	v_fmac_f32_e32 v28, v27, v92
	v_mul_f32_e32 v30, v96, v95
	v_addc_co_u32_e32 v27, vcc, 0, v227, vcc
	v_fmac_f32_e32 v30, v97, v94
	global_load_dwordx4 v[96:99], v[26:27], off offset:1120
	s_waitcnt vmcnt(0) lgkmcnt(10)
	v_mul_f32_e32 v26, v103, v97
	v_fma_f32 v32, v102, v96, -v26
	s_waitcnt lgkmcnt(9)
	v_mul_f32_e32 v26, v107, v99
	v_fma_f32 v34, v106, v98, -v26
	v_mul_u32_u24_e32 v26, 0xda75, v124
	v_lshrrev_b32_e32 v171, 22, v26
	v_mul_lo_u16_e32 v26, 0x96, v171
	v_sub_u16_e32 v172, v203, v26
	v_lshlrev_b16_e32 v26, 4, v172
	v_add_co_u32_e32 v26, vcc, s10, v26
	v_mul_f32_e32 v33, v102, v97
	v_addc_co_u32_e32 v27, vcc, 0, v227, vcc
	v_fmac_f32_e32 v33, v103, v96
	global_load_dwordx4 v[100:103], v[26:27], off offset:1120
	v_mul_f32_e32 v35, v106, v99
	v_fmac_f32_e32 v35, v107, v98
	s_waitcnt vmcnt(0)
	v_mul_f32_e32 v26, v105, v101
	v_fma_f32 v177, v104, v100, -v26
	v_mul_f32_e32 v26, v109, v103
	v_fma_f32 v179, v108, v102, -v26
	v_mul_u32_u24_e32 v26, 0xda75, v82
	v_lshrrev_b32_e32 v173, 22, v26
	v_mul_lo_u16_e32 v26, 0x96, v173
	v_sub_u16_e32 v174, v206, v26
	v_lshlrev_b16_e32 v26, 4, v174
	v_add_co_u32_e32 v26, vcc, s10, v26
	v_mul_f32_e32 v178, v104, v101
	v_addc_co_u32_e32 v27, vcc, 0, v227, vcc
	v_fmac_f32_e32 v178, v105, v100
	global_load_dwordx4 v[104:107], v[26:27], off offset:1120
	v_mul_f32_e32 v180, v108, v103
	v_fmac_f32_e32 v180, v109, v102
	s_waitcnt vmcnt(0) lgkmcnt(7)
	v_mul_f32_e32 v26, v111, v105
	v_fma_f32 v181, v110, v104, -v26
	s_waitcnt lgkmcnt(6)
	v_mul_f32_e32 v26, v115, v107
	v_fma_f32 v183, v114, v106, -v26
	v_mul_u32_u24_e32 v26, 0xda75, v83
	v_lshrrev_b32_e32 v169, 22, v26
	v_mul_lo_u16_e32 v26, 0x96, v169
	v_sub_u16_e32 v170, v207, v26
	v_lshlrev_b16_e32 v26, 4, v170
	v_add_co_u32_e32 v26, vcc, s10, v26
	v_mul_f32_e32 v182, v110, v105
	v_addc_co_u32_e32 v27, vcc, 0, v227, vcc
	v_fmac_f32_e32 v182, v111, v104
	global_load_dwordx4 v[108:111], v[26:27], off offset:1120
	v_mul_f32_e32 v184, v114, v107
	v_fmac_f32_e32 v184, v115, v106
	s_waitcnt vmcnt(0)
	v_mul_f32_e32 v26, v113, v109
	v_fma_f32 v185, v112, v108, -v26
	v_mul_f32_e32 v26, v117, v111
	v_fma_f32 v187, v116, v110, -v26
	v_mul_u32_u24_e32 v26, 0xda75, v121
	v_lshrrev_b32_e32 v167, 22, v26
	v_mul_lo_u16_e32 v26, 0x96, v167
	v_sub_u16_e32 v168, v202, v26
	v_lshlrev_b16_e32 v26, 4, v168
	v_add_co_u32_e32 v26, vcc, s10, v26
	v_mul_f32_e32 v186, v112, v109
	v_addc_co_u32_e32 v27, vcc, 0, v227, vcc
	v_fmac_f32_e32 v186, v113, v108
	global_load_dwordx4 v[112:115], v[26:27], off offset:1120
	v_mul_f32_e32 v188, v116, v111
	v_fmac_f32_e32 v188, v117, v110
	s_waitcnt vmcnt(0) lgkmcnt(4)
	v_mul_f32_e32 v26, v137, v113
	v_fma_f32 v189, v136, v112, -v26
	s_waitcnt lgkmcnt(3)
	v_mul_f32_e32 v26, v141, v115
	v_fma_f32 v191, v140, v114, -v26
	v_mul_u32_u24_e32 v26, 0xda75, v122
	v_lshrrev_b32_e32 v165, 22, v26
	v_mul_lo_u16_e32 v26, 0x96, v165
	v_sub_u16_e32 v166, v205, v26
	v_lshlrev_b16_e32 v26, 4, v166
	v_add_co_u32_e32 v26, vcc, s10, v26
	v_addc_co_u32_e32 v27, vcc, 0, v227, vcc
	global_load_dwordx4 v[116:119], v[26:27], off offset:1120
	v_mul_f32_e32 v192, v140, v115
	v_fmac_f32_e32 v192, v141, v114
	v_mul_f32_e32 v190, v136, v113
	v_fmac_f32_e32 v190, v137, v112
	s_waitcnt vmcnt(0)
	v_mul_f32_e32 v26, v139, v117
	v_fma_f32 v193, v138, v116, -v26
	v_mul_f32_e32 v26, v143, v119
	v_fma_f32 v195, v142, v118, -v26
	v_mul_u32_u24_e32 v26, 0xda75, v125
	v_lshrrev_b32_e32 v83, 22, v26
	v_mul_lo_u16_e32 v26, 0x96, v83
	v_sub_u16_e32 v164, v247, v26
	v_lshlrev_b16_e32 v26, 4, v164
	v_add_co_u32_e32 v26, vcc, s10, v26
	v_addc_co_u32_e32 v27, vcc, 0, v227, vcc
	global_load_dwordx4 v[120:123], v[26:27], off offset:1120
	v_mul_f32_e32 v196, v142, v119
	v_fmac_f32_e32 v196, v143, v118
	v_mul_f32_e32 v194, v138, v117
	v_fmac_f32_e32 v194, v139, v116
	s_waitcnt vmcnt(0) lgkmcnt(1)
	v_mul_f32_e32 v26, v17, v121
	v_fma_f32 v197, v16, v120, -v26
	v_mul_f32_e32 v198, v16, v121
	s_waitcnt lgkmcnt(0)
	v_mul_f32_e32 v16, v13, v123
	v_fma_f32 v199, v12, v122, -v16
	v_mul_f32_e32 v200, v12, v123
	v_mul_u32_u24_e32 v12, 0xda75, v126
	v_lshrrev_b32_e32 v12, 22, v12
	v_mul_lo_u16_e32 v12, 0x96, v12
	v_sub_u16_e32 v82, v204, v12
	v_lshlrev_b16_e32 v12, 4, v82
	v_add_co_u32_e32 v12, vcc, s10, v12
	v_fmac_f32_e32 v200, v13, v122
	v_addc_co_u32_e32 v13, vcc, 0, v227, vcc
	global_load_dwordx4 v[124:127], v[12:13], off offset:1120
	v_fmac_f32_e32 v198, v17, v120
	v_cmp_lt_u16_e32 vcc, 14, v211
	s_waitcnt vmcnt(0)
	s_barrier
	v_mul_f32_e32 v12, v19, v125
	v_fma_f32 v201, v18, v124, -v12
	v_mul_f32_e32 v12, v15, v127
	v_fma_f32 v209, v14, v126, -v12
	v_add_f32_e32 v12, v132, v22
	v_add_f32_e32 v156, v12, v23
	v_add_f32_e32 v12, v22, v23
	v_fma_f32 v154, -0.5, v12, v132
	v_sub_f32_e32 v12, v24, v25
	v_mov_b32_e32 v158, v154
	v_fmac_f32_e32 v158, 0x3f5db3d7, v12
	v_fmac_f32_e32 v154, 0xbf5db3d7, v12
	v_add_f32_e32 v12, v133, v24
	v_add_f32_e32 v157, v12, v25
	v_add_f32_e32 v12, v24, v25
	v_fma_f32 v155, -0.5, v12, v133
	v_sub_f32_e32 v12, v22, v23
	v_mov_b32_e32 v159, v155
	v_fmac_f32_e32 v159, 0xbf5db3d7, v12
	v_fmac_f32_e32 v155, 0x3f5db3d7, v12
	v_add_f32_e32 v12, v134, v21
	v_add_f32_e32 v150, v12, v29
	v_add_f32_e32 v12, v21, v29
	v_fma_f32 v134, -0.5, v12, v134
	v_sub_f32_e32 v12, v28, v30
	v_mov_b32_e32 v152, v134
	v_fmac_f32_e32 v152, 0x3f5db3d7, v12
	v_fmac_f32_e32 v134, 0xbf5db3d7, v12
	v_add_f32_e32 v12, v135, v28
	v_add_f32_e32 v151, v12, v30
	v_add_f32_e32 v12, v28, v30
	v_fmac_f32_e32 v135, -0.5, v12
	v_sub_f32_e32 v12, v21, v29
	v_mov_b32_e32 v153, v135
	v_fmac_f32_e32 v153, 0xbf5db3d7, v12
	v_fmac_f32_e32 v135, 0x3f5db3d7, v12
	v_add_f32_e32 v12, v8, v32
	v_add_f32_e32 v146, v12, v34
	v_add_f32_e32 v12, v32, v34
	v_fma_f32 v144, -0.5, v12, v8
	v_sub_f32_e32 v8, v33, v35
	v_mov_b32_e32 v148, v144
	v_fmac_f32_e32 v148, 0x3f5db3d7, v8
	v_fmac_f32_e32 v144, 0xbf5db3d7, v8
	v_add_f32_e32 v8, v9, v33
	v_add_f32_e32 v147, v8, v35
	v_add_f32_e32 v8, v33, v35
	v_fma_f32 v145, -0.5, v8, v9
	v_sub_f32_e32 v8, v32, v34
	v_mov_b32_e32 v149, v145
	v_fmac_f32_e32 v149, 0xbf5db3d7, v8
	v_fmac_f32_e32 v145, 0x3f5db3d7, v8
	v_add_f32_e32 v8, v10, v177
	v_add_f32_e32 v140, v8, v179
	v_add_f32_e32 v8, v177, v179
	v_fma_f32 v10, -0.5, v8, v10
	v_sub_f32_e32 v8, v178, v180
	v_mov_b32_e32 v142, v10
	v_fmac_f32_e32 v142, 0x3f5db3d7, v8
	v_fmac_f32_e32 v10, 0xbf5db3d7, v8
	v_add_f32_e32 v8, v11, v178
	v_add_f32_e32 v141, v8, v180
	v_add_f32_e32 v8, v178, v180
	v_fmac_f32_e32 v11, -0.5, v8
	v_sub_f32_e32 v8, v177, v179
	v_mov_b32_e32 v143, v11
	v_fmac_f32_e32 v143, 0xbf5db3d7, v8
	v_fmac_f32_e32 v11, 0x3f5db3d7, v8
	;; [unrolled: 32-line block ×3, first 2 shown]
	v_add_f32_e32 v4, v0, v189
	v_add_f32_e32 v23, v4, v191
	;; [unrolled: 1-line block ×3, first 2 shown]
	v_fma_f32 v21, -0.5, v4, v0
	v_sub_f32_e32 v0, v190, v192
	v_mov_b32_e32 v25, v21
	v_fmac_f32_e32 v25, 0x3f5db3d7, v0
	v_fmac_f32_e32 v21, 0xbf5db3d7, v0
	v_add_f32_e32 v0, v1, v190
	v_add_f32_e32 v24, v0, v192
	;; [unrolled: 1-line block ×3, first 2 shown]
	v_fma_f32 v22, -0.5, v0, v1
	v_sub_f32_e32 v0, v189, v191
	v_mov_b32_e32 v26, v22
	v_fmac_f32_e32 v26, 0xbf5db3d7, v0
	v_fmac_f32_e32 v22, 0x3f5db3d7, v0
	v_add_f32_e32 v0, v2, v193
	v_add_f32_e32 v16, v0, v195
	;; [unrolled: 1-line block ×3, first 2 shown]
	v_fma_f32 v2, -0.5, v0, v2
	v_mul_f32_e32 v208, v18, v125
	v_sub_f32_e32 v0, v194, v196
	v_mov_b32_e32 v18, v2
	v_fmac_f32_e32 v18, 0x3f5db3d7, v0
	v_fmac_f32_e32 v2, 0xbf5db3d7, v0
	v_add_f32_e32 v0, v3, v194
	v_add_f32_e32 v17, v0, v196
	;; [unrolled: 1-line block ×3, first 2 shown]
	v_fmac_f32_e32 v3, -0.5, v0
	v_fmac_f32_e32 v208, v19, v124
	v_sub_f32_e32 v0, v193, v195
	v_mov_b32_e32 v19, v3
	v_fmac_f32_e32 v19, 0xbf5db3d7, v0
	v_fmac_f32_e32 v3, 0x3f5db3d7, v0
	v_add_f32_e32 v0, v128, v197
	v_add_f32_e32 v12, v0, v199
	;; [unrolled: 1-line block ×3, first 2 shown]
	v_fma_f32 v8, -0.5, v0, v128
	v_mul_f32_e32 v210, v14, v127
	v_sub_f32_e32 v0, v198, v200
	v_mov_b32_e32 v14, v8
	v_fmac_f32_e32 v14, 0x3f5db3d7, v0
	v_fmac_f32_e32 v8, 0xbf5db3d7, v0
	v_add_f32_e32 v0, v129, v198
	v_add_f32_e32 v13, v0, v200
	;; [unrolled: 1-line block ×3, first 2 shown]
	v_fma_f32 v9, -0.5, v0, v129
	v_fmac_f32_e32 v210, v15, v126
	v_sub_f32_e32 v0, v197, v199
	v_mov_b32_e32 v15, v9
	v_add_f32_e32 v1, v201, v209
	v_fmac_f32_e32 v15, 0xbf5db3d7, v0
	v_fmac_f32_e32 v9, 0x3f5db3d7, v0
	v_add_f32_e32 v0, v130, v201
	v_fma_f32 v130, -0.5, v1, v130
	v_sub_f32_e32 v1, v208, v210
	v_mov_b32_e32 v4, v130
	v_add_f32_e32 v5, v208, v210
	v_fmac_f32_e32 v4, 0x3f5db3d7, v1
	v_fmac_f32_e32 v130, 0xbf5db3d7, v1
	v_add_f32_e32 v1, v131, v208
	v_fmac_f32_e32 v131, -0.5, v5
	v_sub_f32_e32 v32, v201, v209
	v_mov_b32_e32 v5, v131
	v_fmac_f32_e32 v5, 0xbf5db3d7, v32
	v_fmac_f32_e32 v131, 0x3f5db3d7, v32
	v_mov_b32_e32 v32, 0x1c2
	v_cndmask_b32_e32 v32, 0, v32, vcc
	v_add_lshl_u32 v20, v20, v32, 3
	ds_write2_b64 v80, v[156:157], v[158:159] offset1:150
	ds_write_b64 v80, v[154:155] offset:2400
	buffer_store_dword v20, off, s[24:27], 0 offset:488 ; 4-byte Folded Spill
	ds_write2_b64 v20, v[150:151], v[152:153] offset1:150
	ds_write_b64 v20, v[134:135] offset:2400
	v_mad_legacy_u16 v20, v175, s4, v176
	v_lshlrev_b32_e32 v20, 3, v20
	buffer_store_dword v20, off, s[24:27], 0 offset:492 ; 4-byte Folded Spill
	ds_write2_b64 v20, v[146:147], v[148:149] offset1:150
	ds_write_b64 v20, v[144:145] offset:2400
	v_mad_legacy_u16 v20, v171, s4, v172
	v_lshlrev_b32_e32 v20, 3, v20
	;; [unrolled: 5-line block ×7, first 2 shown]
	buffer_store_dword v2, off, s[24:27], 0 offset:516 ; 4-byte Folded Spill
	ds_write2_b64 v2, v[12:13], v[14:15] offset1:150
	ds_write_b64 v2, v[8:9] offset:2400
	v_lshlrev_b32_e32 v2, 3, v82
	v_add_f32_e32 v0, v0, v209
	v_add_f32_e32 v1, v1, v210
	v_add_u32_e32 v3, 0x7000, v2
	buffer_store_dword v2, off, s[24:27], 0 offset:524 ; 4-byte Folded Spill
	buffer_store_dword v3, off, s[24:27], 0 offset:520 ; 4-byte Folded Spill
	ds_write2_b64 v3, v[0:1], v[4:5] offset0:16 offset1:166
	ds_write_b64 v2, v[130:131] offset:31200
	s_waitcnt vmcnt(0) lgkmcnt(0)
	s_barrier
	ds_read2_b64 v[0:3], v80 offset1:135
	ds_read2_b64 v[9:12], v246 offset0:70 offset1:205
	ds_read2_b64 v[15:18], v213 offset0:12 offset1:147
	;; [unrolled: 1-line block ×14, first 2 shown]
	global_load_dwordx4 v[128:131], v163, s[10:11] offset:3520
	v_mov_b32_e32 v35, v212
	v_mov_b32_e32 v246, v217
	;; [unrolled: 1-line block ×3, first 2 shown]
	buffer_store_dword v34, off, s[24:27], 0 offset:468 ; 4-byte Folded Spill
	v_add_u32_e32 v81, 0x2c00, v80
	s_waitcnt vmcnt(1) lgkmcnt(13)
	v_mul_f32_e32 v4, v10, v129
	v_fma_f32 v6, v9, v128, -v4
	s_waitcnt lgkmcnt(12)
	v_mul_f32_e32 v4, v16, v131
	v_fma_f32 v7, v15, v130, -v4
	v_lshlrev_b32_e32 v4, 4, v161
	global_load_dwordx4 v[132:135], v4, s[10:11] offset:3520
	v_mul_f32_e32 v8, v9, v129
	v_add_co_u32_e32 v231, vcc, s10, v4
	v_fmac_f32_e32 v8, v10, v128
	v_mul_f32_e32 v9, v15, v131
	v_addc_co_u32_e32 v232, vcc, 0, v227, vcc
	v_fmac_f32_e32 v9, v16, v130
	s_waitcnt vmcnt(0)
	v_mul_f32_e32 v4, v12, v133
	v_fma_f32 v10, v11, v132, -v4
	v_mul_f32_e32 v4, v18, v135
	v_fma_f32 v15, v17, v134, -v4
	v_lshlrev_b32_e32 v4, 4, v162
	global_load_dwordx4 v[136:139], v4, s[10:11] offset:3520
	v_mul_f32_e32 v11, v11, v133
	v_add_co_u32_e32 v229, vcc, s10, v4
	v_fmac_f32_e32 v11, v12, v132
	v_addc_co_u32_e32 v230, vcc, 0, v227, vcc
	v_mul_f32_e32 v17, v17, v135
	v_fmac_f32_e32 v17, v18, v134
	s_waitcnt vmcnt(0) lgkmcnt(10)
	v_mul_f32_e32 v4, v20, v137
	v_fma_f32 v12, v19, v136, -v4
	s_waitcnt lgkmcnt(9)
	v_mul_f32_e32 v4, v26, v139
	v_fma_f32 v14, v25, v138, -v4
	v_add_co_u32_e32 v4, vcc, s5, v211
	v_addc_co_u32_e64 v5, s[6:7], 0, -1, vcc
	v_cmp_gt_u16_e32 vcc, 45, v211
	v_cndmask_b32_e32 v5, v5, v160, vcc
	v_cndmask_b32_e32 v4, v4, v203, vcc
	v_mul_f32_e32 v13, v19, v137
	v_lshlrev_b64 v[18:19], 4, v[4:5]
	v_mul_f32_e32 v16, v25, v139
	v_add_co_u32_e32 v18, vcc, s10, v18
	v_addc_co_u32_e32 v19, vcc, v227, v19, vcc
	global_load_dwordx4 v[152:155], v[18:19], off offset:3520
	v_add_co_u32_e32 v18, vcc, s3, v31
	v_addc_co_u32_e32 v19, vcc, 0, v228, vcc
	global_load_dwordx4 v[144:147], v[18:19], off offset:864
	global_load_dwordx4 v[140:143], v[18:19], off offset:3024
	v_fmac_f32_e32 v16, v26, v138
	s_mov_b32 s3, 0x91a3
	v_fmac_f32_e32 v13, v20, v136
	s_waitcnt vmcnt(2)
	v_mul_f32_e32 v5, v22, v153
	v_fma_f32 v23, v21, v152, -v5
	v_mul_f32_e32 v5, v28, v155
	v_mul_f32_e32 v25, v21, v153
	v_fma_f32 v26, v27, v154, -v5
	s_waitcnt vmcnt(1) lgkmcnt(7)
	v_mul_f32_e32 v5, v149, v145
	v_fmac_f32_e32 v25, v22, v152
	v_mul_f32_e32 v27, v27, v155
	v_fma_f32 v22, v148, v144, -v5
	s_waitcnt lgkmcnt(6)
	v_mul_f32_e32 v5, v157, v147
	v_fmac_f32_e32 v27, v28, v154
	v_fma_f32 v28, v156, v146, -v5
	s_waitcnt vmcnt(0)
	v_mul_f32_e32 v5, v151, v141
	v_fma_f32 v18, v150, v140, -v5
	v_mul_f32_e32 v5, v159, v143
	v_fma_f32 v21, v158, v142, -v5
	v_mul_u32_u24_sdwa v5, v202, s3 dst_sel:DWORD dst_unused:UNUSED_PAD src0_sel:WORD_0 src1_sel:DWORD
	v_lshrrev_b32_e32 v209, 24, v5
	v_mul_lo_u16_e32 v5, 0x1c2, v209
	v_sub_u16_e32 v210, v202, v5
	v_lshlrev_b16_e32 v5, 4, v210
	v_add_co_u32_e32 v32, vcc, s10, v5
	v_mul_f32_e32 v24, v148, v145
	v_mul_f32_e32 v19, v150, v141
	v_addc_co_u32_e32 v33, vcc, 0, v227, vcc
	v_fmac_f32_e32 v24, v149, v144
	v_fmac_f32_e32 v19, v151, v140
	global_load_dwordx4 v[148:151], v[32:33], off offset:3520
	v_mul_f32_e32 v29, v156, v147
	v_mul_f32_e32 v223, v158, v143
	v_fmac_f32_e32 v29, v157, v146
	v_fmac_f32_e32 v223, v159, v142
	s_waitcnt vmcnt(0) lgkmcnt(4)
	v_mul_f32_e32 v5, v165, v149
	v_fma_f32 v20, v164, v148, -v5
	s_waitcnt lgkmcnt(3)
	v_mul_f32_e32 v5, v185, v151
	v_fma_f32 v220, v184, v150, -v5
	v_mul_u32_u24_sdwa v5, v205, s3 dst_sel:DWORD dst_unused:UNUSED_PAD src0_sel:WORD_0 src1_sel:DWORD
	v_mul_lo_u16_sdwa v5, v5, s4 dst_sel:DWORD dst_unused:UNUSED_PAD src0_sel:BYTE_3 src1_sel:DWORD
	v_sub_u16_e32 v208, v205, v5
	v_lshlrev_b16_e32 v5, 4, v208
	v_add_co_u32_e32 v32, vcc, s10, v5
	v_addc_co_u32_e32 v33, vcc, 0, v227, vcc
	global_load_dwordx4 v[156:159], v[32:33], off offset:3520
	v_mul_f32_e32 v218, v164, v149
	v_fmac_f32_e32 v218, v165, v148
	v_mul_f32_e32 v234, v184, v151
	v_fmac_f32_e32 v234, v185, v150
	s_waitcnt vmcnt(0)
	v_mul_f32_e32 v5, v167, v157
	v_fma_f32 v212, v166, v156, -v5
	v_mul_f32_e32 v5, v187, v159
	v_fma_f32 v219, v186, v158, -v5
	v_mul_u32_u24_sdwa v5, v247, s3 dst_sel:DWORD dst_unused:UNUSED_PAD src0_sel:WORD_0 src1_sel:DWORD
	v_mul_lo_u16_sdwa v5, v5, s4 dst_sel:DWORD dst_unused:UNUSED_PAD src0_sel:BYTE_3 src1_sel:DWORD
	v_sub_u16_e32 v83, v247, v5
	v_lshlrev_b16_e32 v5, 4, v83
	v_add_co_u32_e32 v32, vcc, s10, v5
	v_addc_co_u32_e32 v33, vcc, 0, v227, vcc
	global_load_dwordx4 v[160:163], v[32:33], off offset:3520
	v_mul_f32_e32 v216, v166, v157
	v_fmac_f32_e32 v216, v167, v156
	v_mul_f32_e32 v233, v186, v159
	v_fmac_f32_e32 v233, v187, v158
	s_waitcnt vmcnt(0) lgkmcnt(0)
	v_mul_f32_e32 v30, v193, v163
	v_fma_f32 v217, v192, v162, -v30
	v_mul_u32_u24_sdwa v30, v204, s3 dst_sel:DWORD dst_unused:UNUSED_PAD src0_sel:WORD_0 src1_sel:DWORD
	v_mul_lo_u16_sdwa v30, v30, s4 dst_sel:DWORD dst_unused:UNUSED_PAD src0_sel:BYTE_3 src1_sel:DWORD
	v_sub_u16_e32 v82, v204, v30
	v_lshlrev_b16_e32 v30, 4, v82
	v_add_co_u32_e32 v32, vcc, s10, v30
	v_addc_co_u32_e32 v33, vcc, 0, v227, vcc
	global_load_dwordx4 v[164:167], v[32:33], off offset:3520
	v_mul_f32_e32 v5, v189, v161
	v_fma_f32 v5, v188, v160, -v5
	v_mul_f32_e32 v214, v188, v161
	v_fmac_f32_e32 v214, v189, v160
	v_mul_f32_e32 v222, v192, v163
	v_fmac_f32_e32 v222, v193, v162
	s_waitcnt vmcnt(0)
	s_barrier
	v_cmp_lt_u16_e32 vcc, 44, v34
	s_movk_i32 s3, 0x546
	v_mul_f32_e32 v30, v191, v165
	v_fma_f32 v211, v190, v164, -v30
	v_mul_f32_e32 v30, v195, v167
	v_fma_f32 v215, v194, v166, -v30
	v_add_f32_e32 v30, v0, v6
	v_add_f32_e32 v186, v30, v7
	;; [unrolled: 1-line block ×3, first 2 shown]
	v_fma_f32 v188, -0.5, v30, v0
	v_mul_f32_e32 v213, v190, v165
	v_sub_f32_e32 v0, v8, v9
	v_mov_b32_e32 v190, v188
	v_fmac_f32_e32 v190, 0x3f5db3d7, v0
	v_fmac_f32_e32 v188, 0xbf5db3d7, v0
	v_add_f32_e32 v0, v1, v8
	v_add_f32_e32 v187, v0, v9
	;; [unrolled: 1-line block ×3, first 2 shown]
	v_fma_f32 v189, -0.5, v0, v1
	v_fmac_f32_e32 v213, v191, v164
	v_sub_f32_e32 v0, v6, v7
	v_mov_b32_e32 v191, v189
	v_fmac_f32_e32 v191, 0xbf5db3d7, v0
	v_fmac_f32_e32 v189, 0x3f5db3d7, v0
	v_add_f32_e32 v0, v2, v10
	v_add_f32_e32 v200, v0, v15
	;; [unrolled: 1-line block ×3, first 2 shown]
	v_fma_f32 v2, -0.5, v0, v2
	v_mul_f32_e32 v221, v194, v167
	v_sub_f32_e32 v0, v11, v17
	v_mov_b32_e32 v194, v2
	v_fmac_f32_e32 v194, 0x3f5db3d7, v0
	v_fmac_f32_e32 v2, 0xbf5db3d7, v0
	v_add_f32_e32 v0, v3, v11
	v_add_f32_e32 v201, v0, v17
	;; [unrolled: 1-line block ×3, first 2 shown]
	v_fmac_f32_e32 v3, -0.5, v0
	v_fmac_f32_e32 v221, v195, v166
	v_sub_f32_e32 v0, v10, v15
	v_mov_b32_e32 v195, v3
	v_fmac_f32_e32 v195, 0xbf5db3d7, v0
	v_fmac_f32_e32 v3, 0x3f5db3d7, v0
	v_add_f32_e32 v0, v180, v12
	v_add_f32_e32 v196, v0, v14
	v_add_f32_e32 v0, v12, v14
	v_fma_f32 v192, -0.5, v0, v180
	v_sub_f32_e32 v0, v13, v16
	v_mov_b32_e32 v198, v192
	v_fmac_f32_e32 v198, 0x3f5db3d7, v0
	v_fmac_f32_e32 v192, 0xbf5db3d7, v0
	v_add_f32_e32 v0, v181, v13
	v_add_f32_e32 v197, v0, v16
	v_add_f32_e32 v0, v13, v16
	v_fma_f32 v193, -0.5, v0, v181
	v_sub_f32_e32 v0, v12, v14
	v_mov_b32_e32 v199, v193
	v_fmac_f32_e32 v199, 0xbf5db3d7, v0
	v_fmac_f32_e32 v193, 0x3f5db3d7, v0
	v_add_f32_e32 v0, v182, v23
	v_add_f32_e32 v180, v0, v26
	v_add_f32_e32 v0, v23, v26
	v_fma_f32 v182, -0.5, v0, v182
	v_sub_f32_e32 v0, v25, v27
	v_mov_b32_e32 v184, v182
	v_fmac_f32_e32 v184, 0x3f5db3d7, v0
	v_fmac_f32_e32 v182, 0xbf5db3d7, v0
	v_add_f32_e32 v0, v183, v25
	v_add_f32_e32 v181, v0, v27
	v_add_f32_e32 v0, v25, v27
	v_fmac_f32_e32 v183, -0.5, v0
	v_sub_f32_e32 v0, v23, v26
	v_mov_b32_e32 v185, v183
	v_fmac_f32_e32 v185, 0xbf5db3d7, v0
	v_fmac_f32_e32 v183, 0x3f5db3d7, v0
	v_add_f32_e32 v0, v176, v22
	v_add_f32_e32 v25, v0, v28
	v_add_f32_e32 v0, v22, v28
	v_fma_f32 v23, -0.5, v0, v176
	v_sub_f32_e32 v0, v24, v29
	v_mov_b32_e32 v27, v23
	v_fmac_f32_e32 v27, 0x3f5db3d7, v0
	v_fmac_f32_e32 v23, 0xbf5db3d7, v0
	v_add_f32_e32 v0, v177, v24
	v_add_f32_e32 v26, v0, v29
	v_add_f32_e32 v0, v24, v29
	v_fma_f32 v24, -0.5, v0, v177
	v_sub_f32_e32 v0, v22, v28
	v_mov_b32_e32 v28, v24
	v_fmac_f32_e32 v28, 0xbf5db3d7, v0
	v_fmac_f32_e32 v24, 0x3f5db3d7, v0
	v_add_f32_e32 v0, v178, v18
	v_add_f32_e32 v29, v0, v21
	v_add_f32_e32 v0, v18, v21
	v_fma_f32 v178, -0.5, v0, v178
	v_sub_f32_e32 v0, v19, v223
	v_mov_b32_e32 v176, v178
	v_fmac_f32_e32 v176, 0x3f5db3d7, v0
	v_fmac_f32_e32 v178, 0xbf5db3d7, v0
	v_add_f32_e32 v0, v179, v19
	v_add_f32_e32 v30, v0, v223
	v_add_f32_e32 v0, v19, v223
	v_fmac_f32_e32 v179, -0.5, v0
	;; [unrolled: 32-line block ×3, first 2 shown]
	v_sub_f32_e32 v0, v212, v219
	v_mov_b32_e32 v16, v175
	v_fmac_f32_e32 v16, 0xbf5db3d7, v0
	v_fmac_f32_e32 v175, 0x3f5db3d7, v0
	v_add_f32_e32 v0, v168, v5
	v_add_f32_e32 v9, v0, v217
	v_add_f32_e32 v0, v5, v217
	v_fma_f32 v7, -0.5, v0, v168
	v_sub_f32_e32 v0, v214, v222
	v_mov_b32_e32 v11, v7
	v_fmac_f32_e32 v11, 0x3f5db3d7, v0
	v_fmac_f32_e32 v7, 0xbf5db3d7, v0
	v_add_f32_e32 v0, v169, v214
	ds_write_b64 v80, v[190:191] offset:3600
	ds_write_b64 v80, v[188:189] offset:7200
	ds_write2_b64 v80, v[186:187], v[200:201] offset1:135
	ds_write_b64 v80, v[196:197] offset:2160
	ds_write2_b64 v226, v[194:195], v[198:199] offset0:73 offset1:208
	ds_write2_b64 v236, v[2:3], v[192:193] offset0:11 offset1:146
	v_mov_b32_e32 v2, 0x546
	v_add_f32_e32 v10, v0, v222
	v_add_f32_e32 v0, v214, v222
	v_cndmask_b32_e32 v2, 0, v2, vcc
	v_fma_f32 v8, -0.5, v0, v169
	v_add_lshl_u32 v2, v4, v2, 3
	v_sub_f32_e32 v0, v5, v217
	v_mov_b32_e32 v12, v8
	v_add_f32_e32 v1, v211, v215
	ds_write_b64 v2, v[180:181]
	ds_write_b64 v2, v[184:185] offset:3600
	buffer_store_dword v2, off, s[24:27], 0 offset:528 ; 4-byte Folded Spill
	ds_write_b64 v2, v[182:183] offset:7200
	v_add_u32_e32 v2, 0x4800, v80
	v_fmac_f32_e32 v12, 0xbf5db3d7, v0
	v_fmac_f32_e32 v8, 0x3f5db3d7, v0
	v_add_f32_e32 v0, v170, v211
	v_fma_f32 v170, -0.5, v1, v170
	ds_write2_b64 v81, v[25:26], v[29:30] offset0:32 offset1:167
	ds_write2_b64 v235, v[27:28], v[176:177] offset0:98 offset1:233
	;; [unrolled: 1-line block ×3, first 2 shown]
	v_mad_legacy_u16 v2, v209, s3, v210
	v_sub_f32_e32 v1, v213, v221
	v_mov_b32_e32 v5, v170
	v_add_f32_e32 v6, v213, v221
	v_lshlrev_b32_e32 v2, 3, v2
	v_fmac_f32_e32 v5, 0x3f5db3d7, v1
	v_fmac_f32_e32 v170, 0xbf5db3d7, v1
	v_add_f32_e32 v1, v171, v213
	v_fmac_f32_e32 v171, -0.5, v6
	ds_write_b64 v2, v[21:22]
	buffer_store_dword v2, off, s[24:27], 0 offset:532 ; 4-byte Folded Spill
	ds_write_b64 v2, v[19:20] offset:3600
	ds_write_b64 v2, v[17:18] offset:7200
	v_lshlrev_b32_e32 v2, 3, v208
	v_sub_f32_e32 v32, v211, v215
	v_mov_b32_e32 v6, v171
	ds_write_b64 v2, v[13:14] offset:21600
	ds_write_b64 v2, v[15:16] offset:25200
	buffer_store_dword v2, off, s[24:27], 0 offset:536 ; 4-byte Folded Spill
	ds_write_b64 v2, v[174:175] offset:28800
	v_lshlrev_b32_e32 v2, 3, v83
	v_add_co_u32_e32 v16, vcc, s2, v31
	v_add_f32_e32 v0, v0, v215
	v_add_f32_e32 v1, v1, v221
	v_fmac_f32_e32 v6, 0xbf5db3d7, v32
	v_fmac_f32_e32 v171, 0x3f5db3d7, v32
	v_mov_b32_e32 v32, v236
	ds_write_b64 v2, v[9:10] offset:21600
	ds_write_b64 v2, v[11:12] offset:25200
	buffer_store_dword v2, off, s[24:27], 0 offset:540 ; 4-byte Folded Spill
	ds_write_b64 v2, v[7:8] offset:28800
	v_lshlrev_b32_e32 v2, 3, v82
	v_addc_co_u32_e32 v17, vcc, 0, v228, vcc
	ds_write_b64 v2, v[0:1] offset:21600
	ds_write_b64 v2, v[5:6] offset:25200
	buffer_store_dword v2, off, s[24:27], 0 offset:544 ; 4-byte Folded Spill
	ds_write_b64 v2, v[170:171] offset:28800
	s_waitcnt vmcnt(0) lgkmcnt(0)
	s_barrier
	ds_read2_b64 v[4:7], v80 offset1:135
	ds_read2_b64 v[8:11], v37 offset0:70 offset1:205
	ds_read2_b64 v[12:15], v238 offset0:12 offset1:147
	v_mov_b32_e32 v82, v237
	ds_read2_b64 v[220:223], v237 offset0:14 offset1:149
	ds_read2_b64 v[18:21], v239 offset0:84 offset1:219
	v_mov_b32_e32 v83, v239
	ds_read2_b64 v[182:185], v35 offset0:26 offset1:161
	ds_read2_b64 v[216:219], v226 offset0:28 offset1:163
	;; [unrolled: 1-line block ×10, first 2 shown]
	global_load_dwordx4 v[168:171], v[16:17], off offset:2528
	v_mov_b32_e32 v36, v244
	v_mov_b32_e32 v244, v32
	v_mov_b32_e32 v35, v226
	s_waitcnt vmcnt(0) lgkmcnt(13)
	v_mul_f32_e32 v16, v9, v169
	v_fma_f32 v32, v8, v168, -v16
	v_mul_f32_e32 v8, v8, v169
	v_fmac_f32_e32 v8, v9, v168
	s_waitcnt lgkmcnt(12)
	v_mul_f32_e32 v9, v13, v171
	v_fma_f32 v226, v12, v170, -v9
	v_mul_f32_e32 v9, v12, v171
	v_add_co_u32_e32 v12, vcc, s2, v231
	v_fmac_f32_e32 v9, v13, v170
	v_addc_co_u32_e32 v13, vcc, 0, v232, vcc
	global_load_dwordx4 v[172:175], v[12:13], off offset:2528
	s_waitcnt vmcnt(0)
	v_mul_f32_e32 v12, v11, v173
	v_fma_f32 v17, v10, v172, -v12
	v_mul_f32_e32 v10, v10, v173
	v_fmac_f32_e32 v10, v11, v172
	v_mul_f32_e32 v11, v15, v175
	v_fma_f32 v31, v14, v174, -v11
	v_add_co_u32_e32 v11, vcc, s2, v229
	v_addc_co_u32_e32 v12, vcc, 0, v230, vcc
	global_load_dwordx4 v[176:179], v[11:12], off offset:2528
	v_mul_f32_e32 v228, v14, v175
	v_fmac_f32_e32 v228, v15, v174
	s_waitcnt vmcnt(0) lgkmcnt(10)
	v_mul_f32_e32 v11, v19, v177
	v_fma_f32 v24, v18, v176, -v11
	s_waitcnt lgkmcnt(9)
	v_mul_f32_e32 v11, v183, v179
	v_fma_f32 v241, v182, v178, -v11
	v_lshlrev_b32_e32 v11, 4, v203
	v_add_co_u32_e32 v11, vcc, s10, v11
	v_addc_co_u32_e32 v12, vcc, 0, v227, vcc
	v_add_co_u32_e32 v11, vcc, s2, v11
	v_mul_f32_e32 v229, v182, v179
	v_addc_co_u32_e32 v12, vcc, 0, v12, vcc
	v_fmac_f32_e32 v229, v183, v178
	global_load_dwordx4 v[180:183], v[11:12], off offset:2528
	v_mul_f32_e32 v28, v18, v177
	v_fmac_f32_e32 v28, v19, v176
	s_waitcnt vmcnt(0)
	v_mul_f32_e32 v11, v21, v181
	v_fma_f32 v19, v20, v180, -v11
	v_mul_f32_e32 v11, v185, v183
	v_fma_f32 v27, v184, v182, -v11
	v_lshlrev_b32_e32 v11, 4, v206
	v_add_co_u32_e32 v11, vcc, s10, v11
	v_addc_co_u32_e32 v12, vcc, 0, v227, vcc
	v_add_co_u32_e32 v11, vcc, s2, v11
	v_mul_f32_e32 v34, v184, v183
	v_addc_co_u32_e32 v12, vcc, 0, v12, vcc
	v_fmac_f32_e32 v34, v185, v182
	global_load_dwordx4 v[184:187], v[11:12], off offset:2528
	v_mul_f32_e32 v25, v20, v181
	v_fmac_f32_e32 v25, v21, v180
	s_waitcnt vmcnt(0) lgkmcnt(7)
	v_mul_f32_e32 v11, v191, v185
	v_fma_f32 v12, v190, v184, -v11
	s_waitcnt lgkmcnt(6)
	v_mul_f32_e32 v11, v195, v187
	v_fma_f32 v26, v194, v186, -v11
	v_lshlrev_b32_e32 v11, 4, v207
	v_add_co_u32_e32 v11, vcc, s10, v11
	v_addc_co_u32_e32 v14, vcc, 0, v227, vcc
	v_add_co_u32_e32 v13, vcc, s2, v11
	v_mul_f32_e32 v23, v190, v185
	v_addc_co_u32_e32 v14, vcc, 0, v14, vcc
	v_fmac_f32_e32 v23, v191, v184
	global_load_dwordx4 v[188:191], v[13:14], off offset:2528
	v_mul_f32_e32 v29, v194, v187
	v_fmac_f32_e32 v29, v195, v186
	s_waitcnt vmcnt(0)
	v_mul_f32_e32 v11, v193, v189
	v_fma_f32 v13, v192, v188, -v11
	v_mul_f32_e32 v11, v197, v191
	v_fma_f32 v20, v196, v190, -v11
	v_lshlrev_b32_e32 v11, 4, v202
	v_add_co_u32_e32 v11, vcc, s10, v11
	v_addc_co_u32_e32 v15, vcc, 0, v227, vcc
	v_add_co_u32_e32 v14, vcc, s2, v11
	v_mul_f32_e32 v18, v192, v189
	v_addc_co_u32_e32 v15, vcc, 0, v15, vcc
	v_fmac_f32_e32 v18, v193, v188
	global_load_dwordx4 v[192:195], v[14:15], off offset:2528
	v_mul_f32_e32 v255, v196, v191
	v_fmac_f32_e32 v255, v197, v190
	s_waitcnt vmcnt(0) lgkmcnt(4)
	v_mul_f32_e32 v11, v199, v193
	v_fma_f32 v15, v198, v192, -v11
	s_waitcnt lgkmcnt(3)
	v_mul_f32_e32 v11, v234, v195
	v_fma_f32 v22, v233, v194, -v11
	v_lshlrev_b32_e32 v11, 4, v205
	v_add_co_u32_e32 v11, vcc, s10, v11
	v_addc_co_u32_e32 v14, vcc, 0, v227, vcc
	v_add_co_u32_e32 v196, vcc, s2, v11
	v_mul_f32_e32 v21, v198, v193
	v_addc_co_u32_e32 v197, vcc, 0, v14, vcc
	v_fmac_f32_e32 v21, v199, v192
	global_load_dwordx4 v[196:199], v[196:197], off offset:2528
	v_mul_f32_e32 v254, v233, v195
	v_fmac_f32_e32 v254, v234, v194
	s_waitcnt vmcnt(0)
	v_mul_f32_e32 v11, v201, v197
	v_fma_f32 v33, v200, v196, -v11
	v_mul_f32_e32 v11, v236, v199
	v_fma_f32 v251, v235, v198, -v11
	v_lshlrev_b32_e32 v11, 4, v247
	v_add_co_u32_e32 v11, vcc, s10, v11
	v_addc_co_u32_e32 v14, vcc, 0, v227, vcc
	v_mul_f32_e32 v249, v200, v197
	v_add_co_u32_e32 v200, vcc, s2, v11
	v_fmac_f32_e32 v249, v201, v196
	v_addc_co_u32_e32 v201, vcc, 0, v14, vcc
	global_load_dwordx4 v[200:203], v[200:201], off offset:2528
	v_mul_f32_e32 v253, v235, v199
	v_fmac_f32_e32 v253, v236, v198
	s_waitcnt vmcnt(0) lgkmcnt(0)
	v_mul_f32_e32 v16, v1, v203
	v_fma_f32 v16, v0, v202, -v16
	v_mul_f32_e32 v252, v0, v203
	v_lshlrev_b32_e32 v0, 4, v204
	v_add_co_u32_e32 v0, vcc, s10, v0
	v_fmac_f32_e32 v252, v1, v202
	v_addc_co_u32_e32 v1, vcc, 0, v227, vcc
	v_add_co_u32_e32 v0, vcc, s2, v0
	v_addc_co_u32_e32 v1, vcc, 0, v1, vcc
	global_load_dwordx4 v[204:207], v[0:1], off offset:2528
	v_mul_f32_e32 v14, v237, v201
	v_mul_f32_e32 v11, v238, v201
	v_fmac_f32_e32 v14, v238, v200
	v_fma_f32 v11, v237, v200, -v11
	v_sub_f32_e32 v1, v14, v252
	s_movk_i32 s2, 0x7e90
	s_waitcnt vmcnt(0)
	v_mul_f32_e32 v0, v240, v205
	v_fma_f32 v30, v239, v204, -v0
	v_mul_f32_e32 v0, v3, v207
	v_fma_f32 v248, v2, v206, -v0
	v_add_f32_e32 v0, v4, v32
	v_add_f32_e32 v230, v0, v226
	v_add_f32_e32 v0, v32, v226
	v_fma_f32 v232, -0.5, v0, v4
	v_sub_f32_e32 v0, v8, v9
	v_mov_b32_e32 v234, v232
	v_fmac_f32_e32 v234, 0x3f5db3d7, v0
	v_fmac_f32_e32 v232, 0xbf5db3d7, v0
	v_add_f32_e32 v0, v5, v8
	v_add_f32_e32 v231, v0, v9
	v_add_f32_e32 v0, v8, v9
	v_fma_f32 v233, -0.5, v0, v5
	v_sub_f32_e32 v0, v32, v226
	v_mov_b32_e32 v235, v233
	v_fmac_f32_e32 v235, 0xbf5db3d7, v0
	v_fmac_f32_e32 v233, 0x3f5db3d7, v0
	;; [unrolled: 8-line block ×3, first 2 shown]
	v_add_f32_e32 v0, v7, v10
	v_add_f32_e32 v237, v0, v228
	;; [unrolled: 1-line block ×3, first 2 shown]
	v_fmac_f32_e32 v7, -0.5, v0
	v_mul_f32_e32 v247, v239, v205
	v_sub_f32_e32 v0, v17, v31
	v_mov_b32_e32 v239, v7
	v_fmac_f32_e32 v239, 0xbf5db3d7, v0
	v_fmac_f32_e32 v7, 0x3f5db3d7, v0
	v_add_f32_e32 v0, v220, v24
	v_add_f32_e32 v8, v0, v241
	v_add_f32_e32 v0, v24, v241
	v_fma_f32 v228, -0.5, v0, v220
	v_fmac_f32_e32 v247, v240, v204
	v_sub_f32_e32 v0, v28, v229
	v_mov_b32_e32 v240, v228
	v_fmac_f32_e32 v240, 0x3f5db3d7, v0
	v_fmac_f32_e32 v228, 0xbf5db3d7, v0
	v_add_f32_e32 v0, v221, v28
	v_add_f32_e32 v9, v0, v229
	;; [unrolled: 1-line block ×3, first 2 shown]
	v_fma_f32 v229, -0.5, v0, v221
	v_sub_f32_e32 v0, v24, v241
	v_mov_b32_e32 v241, v229
	v_fmac_f32_e32 v241, 0xbf5db3d7, v0
	v_fmac_f32_e32 v229, 0x3f5db3d7, v0
	v_add_f32_e32 v0, v222, v19
	v_add_f32_e32 v220, v0, v27
	;; [unrolled: 1-line block ×3, first 2 shown]
	v_fma_f32 v222, -0.5, v0, v222
	v_sub_f32_e32 v0, v25, v34
	v_mov_b32_e32 v226, v222
	v_fmac_f32_e32 v226, 0x3f5db3d7, v0
	v_fmac_f32_e32 v222, 0xbf5db3d7, v0
	v_add_f32_e32 v0, v223, v25
	v_add_f32_e32 v221, v0, v34
	;; [unrolled: 1-line block ×3, first 2 shown]
	v_fmac_f32_e32 v223, -0.5, v0
	v_sub_f32_e32 v0, v19, v27
	v_mov_b32_e32 v227, v223
	v_fmac_f32_e32 v227, 0xbf5db3d7, v0
	v_fmac_f32_e32 v223, 0x3f5db3d7, v0
	v_add_f32_e32 v0, v216, v12
	v_add_f32_e32 v24, v0, v26
	v_add_f32_e32 v0, v12, v26
	v_fma_f32 v28, -0.5, v0, v216
	v_sub_f32_e32 v0, v23, v29
	v_mov_b32_e32 v216, v28
	v_fmac_f32_e32 v216, 0x3f5db3d7, v0
	v_fmac_f32_e32 v28, 0xbf5db3d7, v0
	v_add_f32_e32 v0, v217, v23
	v_add_f32_e32 v25, v0, v29
	v_add_f32_e32 v0, v23, v29
	v_fma_f32 v29, -0.5, v0, v217
	;; [unrolled: 8-line block ×3, first 2 shown]
	v_sub_f32_e32 v0, v18, v255
	v_mov_b32_e32 v12, v218
	v_fmac_f32_e32 v12, 0x3f5db3d7, v0
	v_fmac_f32_e32 v218, 0xbf5db3d7, v0
	v_add_f32_e32 v0, v219, v18
	v_add_f32_e32 v27, v0, v255
	;; [unrolled: 1-line block ×3, first 2 shown]
	v_fmac_f32_e32 v219, -0.5, v0
	v_sub_f32_e32 v0, v13, v20
	v_mov_b32_e32 v13, v219
	v_fmac_f32_e32 v13, 0xbf5db3d7, v0
	v_fmac_f32_e32 v219, 0x3f5db3d7, v0
	v_add_f32_e32 v0, v212, v15
	v_add_f32_e32 v18, v0, v22
	;; [unrolled: 1-line block ×3, first 2 shown]
	v_mul_f32_e32 v250, v2, v207
	v_fma_f32 v2, -0.5, v0, v212
	v_sub_f32_e32 v0, v21, v254
	v_mov_b32_e32 v20, v2
	v_fmac_f32_e32 v20, 0x3f5db3d7, v0
	v_fmac_f32_e32 v2, 0xbf5db3d7, v0
	v_add_f32_e32 v0, v213, v21
	v_add_f32_e32 v19, v0, v254
	v_add_f32_e32 v0, v21, v254
	v_fmac_f32_e32 v250, v3, v206
	v_fma_f32 v3, -0.5, v0, v213
	v_sub_f32_e32 v0, v15, v22
	v_mov_b32_e32 v21, v3
	v_fmac_f32_e32 v21, 0xbf5db3d7, v0
	v_fmac_f32_e32 v3, 0x3f5db3d7, v0
	v_add_f32_e32 v0, v214, v33
	v_add_f32_e32 v22, v0, v251
	;; [unrolled: 1-line block ×3, first 2 shown]
	v_fma_f32 v214, -0.5, v0, v214
	v_sub_f32_e32 v0, v249, v253
	v_mov_b32_e32 v4, v214
	v_fmac_f32_e32 v4, 0x3f5db3d7, v0
	v_fmac_f32_e32 v214, 0xbf5db3d7, v0
	v_add_f32_e32 v0, v215, v249
	v_add_f32_e32 v23, v0, v253
	;; [unrolled: 1-line block ×3, first 2 shown]
	v_fmac_f32_e32 v215, -0.5, v0
	v_sub_f32_e32 v0, v33, v251
	v_mov_b32_e32 v5, v215
	v_fmac_f32_e32 v5, 0xbf5db3d7, v0
	v_fmac_f32_e32 v215, 0x3f5db3d7, v0
	v_add_f32_e32 v0, v208, v11
	v_add_f32_e32 v212, v0, v16
	v_add_f32_e32 v0, v11, v16
	v_fma_f32 v0, -0.5, v0, v208
	v_mov_b32_e32 v10, v0
	v_fmac_f32_e32 v10, 0x3f5db3d7, v1
	v_fmac_f32_e32 v0, 0xbf5db3d7, v1
	v_add_f32_e32 v1, v209, v14
	v_add_f32_e32 v213, v1, v252
	;; [unrolled: 1-line block ×3, first 2 shown]
	v_fma_f32 v1, -0.5, v1, v209
	v_sub_f32_e32 v14, v11, v16
	v_mov_b32_e32 v11, v1
	v_add_f32_e32 v15, v30, v248
	v_fmac_f32_e32 v11, 0xbf5db3d7, v14
	v_fmac_f32_e32 v1, 0x3f5db3d7, v14
	v_add_f32_e32 v14, v210, v30
	v_fma_f32 v210, -0.5, v15, v210
	v_sub_f32_e32 v15, v247, v250
	v_mov_b32_e32 v16, v210
	v_add_f32_e32 v17, v247, v250
	v_fmac_f32_e32 v16, 0x3f5db3d7, v15
	v_fmac_f32_e32 v210, 0xbf5db3d7, v15
	v_add_f32_e32 v15, v211, v247
	v_fmac_f32_e32 v211, -0.5, v17
	v_sub_f32_e32 v30, v30, v248
	v_mov_b32_e32 v17, v211
	v_fmac_f32_e32 v17, 0xbf5db3d7, v30
	v_fmac_f32_e32 v211, 0x3f5db3d7, v30
	v_add_u32_e32 v30, 0x5800, v80
	ds_write_b64 v80, v[234:235] offset:10800
	ds_write_b64 v80, v[232:233] offset:21600
	ds_write2_b64 v80, v[230:231], v[236:237] offset1:135
	ds_write2_b64 v81, v[238:239], v[240:241] offset0:77 offset1:212
	ds_write2_b64 v30, v[6:7], v[228:229] offset0:19 offset1:154
	v_mov_b32_e32 v255, v30
	v_mov_b32_e32 v30, v82
	ds_write2_b64 v82, v[8:9], v[220:221] offset0:14 offset1:149
	v_add_u32_e32 v247, 0x3400, v80
	v_add_u32_e32 v82, 0x6000, v80
	;; [unrolled: 1-line block ×3, first 2 shown]
	v_add_f32_e32 v14, v14, v248
	v_add_f32_e32 v15, v15, v250
	ds_write2_b64 v247, v[226:227], v[216:217] offset0:91 offset1:226
	ds_write2_b64 v82, v[222:223], v[28:29] offset0:33 offset1:168
	;; [unrolled: 1-line block ×3, first 2 shown]
	ds_write_b64 v80, v[218:219] offset:27000
	ds_write2_b64 v6, v[12:13], v[20:21] offset0:105 offset1:240
	ds_write2_b64 v36, v[2:3], v[214:215] offset0:54 offset1:189
	v_add_u32_e32 v2, 0x4400, v80
	ds_write2_b64 v246, v[18:19], v[22:23] offset0:42 offset1:177
	ds_write2_b64 v2, v[4:5], v[10:11] offset0:119 offset1:254
	;; [unrolled: 1-line block ×3, first 2 shown]
	ds_write_b64 v80, v[16:17] offset:20520
	ds_write2_b64 v245, v[0:1], v[210:211] offset0:68 offset1:203
	s_waitcnt lgkmcnt(0)
	s_barrier
	global_load_dwordx2 v[0:1], v[224:225], off offset:3728
	v_mov_b32_e32 v250, v6
	ds_read2_b64 v[6:9], v80 offset1:135
	v_add_co_u32_e32 v214, vcc, s2, v242
	v_mov_b32_e32 v249, v81
	v_mov_b32_e32 v81, v246
	;; [unrolled: 1-line block ×3, first 2 shown]
	v_addc_co_u32_e32 v215, vcc, 0, v243, vcc
	s_mov_b32 s2, 0x9000
	v_add_co_u32_e32 v218, vcc, s2, v242
	v_mov_b32_e32 v232, v35
	v_addc_co_u32_e32 v219, vcc, 0, v243, vcc
	s_mov_b32 s2, 0xa000
	v_add_co_u32_e32 v210, vcc, s2, v242
	v_addc_co_u32_e32 v211, vcc, 0, v243, vcc
	s_mov_b32 s2, 0xb000
	v_add_co_u32_e32 v28, vcc, s2, v242
	v_addc_co_u32_e32 v29, vcc, 0, v243, vcc
	v_mov_b32_e32 v228, v36
	v_mov_b32_e32 v36, v30
	;; [unrolled: 1-line block ×3, first 2 shown]
	s_mov_b32 s2, 0xc000
	v_add_co_u32_e32 v208, vcc, s2, v242
	v_addc_co_u32_e32 v209, vcc, 0, v243, vcc
	s_mov_b32 s2, 0xd000
	v_add_co_u32_e32 v24, vcc, s2, v242
	v_addc_co_u32_e32 v25, vcc, 0, v243, vcc
	v_add_u32_e32 v253, 0x5400, v80
	s_mov_b32 s2, 0xe000
	v_mov_b32_e32 v252, v38
	v_mov_b32_e32 v37, v81
	;; [unrolled: 1-line block ×3, first 2 shown]
	v_add_u32_e32 v251, 0x4000, v80
	s_waitcnt vmcnt(0) lgkmcnt(0)
	v_mul_f32_e32 v2, v7, v1
	v_mul_f32_e32 v3, v6, v1
	v_fma_f32 v2, v6, v0, -v2
	v_fmac_f32_e32 v3, v7, v0
	global_load_dwordx2 v[0:1], v[214:215], off offset:3240
	ds_write_b64 v80, v[2:3]
	ds_read2_b64 v[18:21], v30 offset0:14 offset1:149
	ds_read2_b64 v[14:17], v244 offset0:56 offset1:191
	ds_read2_b64 v[30:33], v83 offset0:84 offset1:219
	v_add_u32_e32 v83, 0x3800, v80
	ds_read2_b64 v[10:13], v83 offset0:98 offset1:233
	ds_read2_b64 v[220:223], v38 offset0:62 offset1:197
	;; [unrolled: 1-line block ×4, first 2 shown]
	v_mov_b32_e32 v38, v228
	v_mov_b32_e32 v39, v232
	s_waitcnt vmcnt(0) lgkmcnt(6)
	v_mul_f32_e32 v2, v21, v1
	v_mul_f32_e32 v35, v20, v1
	v_fma_f32 v34, v20, v0, -v2
	v_fmac_f32_e32 v35, v21, v0
	global_load_dwordx2 v[0:1], v[218:219], off offset:2016
	ds_read2_b64 v[20:23], v81 offset0:42 offset1:177
	v_mov_b32_e32 v81, v244
	v_add_u32_e32 v244, 0x2800, v80
	s_waitcnt vmcnt(0) lgkmcnt(0)
	v_mul_f32_e32 v2, v21, v1
	v_mul_f32_e32 v217, v20, v1
	v_fma_f32 v216, v20, v0, -v2
	v_fmac_f32_e32 v217, v21, v0
	global_load_dwordx2 v[0:1], v[210:211], off offset:1160
	s_waitcnt vmcnt(0)
	v_mul_f32_e32 v2, v17, v1
	v_mul_f32_e32 v21, v16, v1
	v_fma_f32 v20, v16, v0, -v2
	v_fmac_f32_e32 v21, v17, v0
	global_load_dwordx2 v[0:1], v[28:29], off offset:304
	v_add_co_u32_e32 v16, vcc, s2, v242
	v_addc_co_u32_e32 v17, vcc, 0, v243, vcc
	s_mov_b32 s2, 0xf000
	s_waitcnt vmcnt(0)
	v_mul_f32_e32 v2, v31, v1
	v_mul_f32_e32 v213, v30, v1
	v_fma_f32 v212, v30, v0, -v2
	v_fmac_f32_e32 v213, v31, v0
	global_load_dwordx2 v[0:1], v[28:29], off offset:3544
	s_waitcnt vmcnt(0)
	v_mul_f32_e32 v2, v13, v1
	v_mul_f32_e32 v237, v12, v1
	v_fma_f32 v236, v12, v0, -v2
	v_fmac_f32_e32 v237, v13, v0
	global_load_dwordx2 v[0:1], v[208:209], off offset:2688
	v_add_co_u32_e32 v12, vcc, s2, v242
	v_addc_co_u32_e32 v13, vcc, 0, v243, vcc
	s_mov_b32 s2, 0x8000
	s_waitcnt vmcnt(0)
	v_mul_f32_e32 v2, v221, v1
	v_mul_f32_e32 v31, v220, v1
	v_fma_f32 v30, v220, v0, -v2
	v_fmac_f32_e32 v31, v221, v0
	global_load_dwordx2 v[0:1], v[24:25], off offset:1832
	s_waitcnt vmcnt(0)
	v_mul_f32_e32 v2, v7, v1
	v_mul_f32_e32 v239, v6, v1
	v_fma_f32 v238, v6, v0, -v2
	v_fmac_f32_e32 v239, v7, v0
	global_load_dwordx2 v[0:1], v[16:17], off offset:976
	global_load_dwordx2 v[6:7], v[12:13], off offset:120
	s_waitcnt vmcnt(1)
	v_mul_f32_e32 v2, v225, v1
	v_mul_f32_e32 v27, v224, v1
	v_fma_f32 v26, v224, v0, -v2
	v_fmac_f32_e32 v27, v225, v0
	ds_read2_b64 v[0:3], v228 offset0:54 offset1:189
	ds_read2_b64 v[228:231], v232 offset0:28 offset1:163
	;; [unrolled: 1-line block ×3, first 2 shown]
	s_waitcnt vmcnt(0) lgkmcnt(2)
	v_mul_f32_e32 v220, v3, v7
	v_mul_f32_e32 v225, v2, v7
	v_fma_f32 v224, v2, v6, -v220
	v_fmac_f32_e32 v225, v3, v6
	global_load_dwordx2 v[2:3], v[214:215], off offset:1080
	s_waitcnt vmcnt(0)
	v_mul_f32_e32 v6, v9, v3
	v_mul_f32_e32 v241, v8, v3
	v_fma_f32 v240, v8, v2, -v6
	v_fmac_f32_e32 v241, v9, v2
	v_add_co_u32_e32 v2, vcc, s2, v242
	v_addc_co_u32_e32 v3, vcc, 0, v243, vcc
	global_load_dwordx2 v[2:3], v[2:3], off offset:3952
	s_mov_b32 s2, 0xc0898b71
	s_mov_b32 s3, 0x3f302e85
	s_waitcnt vmcnt(0) lgkmcnt(1)
	v_mul_f32_e32 v6, v229, v3
	v_mul_f32_e32 v7, v228, v3
	v_fma_f32 v6, v228, v2, -v6
	v_fmac_f32_e32 v7, v229, v2
	v_add_u32_e32 v2, 0xc00, v80
	ds_write2_b64 v2, v[34:35], v[6:7] offset0:21 offset1:156
	global_load_dwordx2 v[2:3], v[218:219], off offset:3096
	s_waitcnt vmcnt(0)
	v_mul_f32_e32 v6, v23, v3
	v_mul_f32_e32 v229, v22, v3
	v_fma_f32 v228, v22, v2, -v6
	v_fmac_f32_e32 v229, v23, v2
	global_load_dwordx2 v[2:3], v[210:211], off offset:2240
	s_waitcnt vmcnt(0) lgkmcnt(1)
	v_mul_f32_e32 v6, v233, v3
	v_mul_f32_e32 v7, v232, v3
	v_fma_f32 v6, v232, v2, -v6
	v_fmac_f32_e32 v7, v233, v2
	v_add_u32_e32 v2, 0x2400, v80
	ds_write2_b64 v2, v[20:21], v[6:7] offset0:63 offset1:198
	global_load_dwordx2 v[2:3], v[28:29], off offset:1384
	s_waitcnt vmcnt(0)
	v_mul_f32_e32 v6, v33, v3
	v_mul_f32_e32 v233, v32, v3
	v_fma_f32 v232, v32, v2, -v6
	v_fmac_f32_e32 v233, v33, v2
	global_load_dwordx2 v[2:3], v[208:209], off offset:528
	ds_read2_b64 v[32:35], v251 offset0:112 offset1:247
	s_waitcnt vmcnt(0) lgkmcnt(0)
	v_mul_f32_e32 v6, v33, v3
	v_mul_f32_e32 v7, v32, v3
	v_fma_f32 v6, v32, v2, -v6
	v_fmac_f32_e32 v7, v33, v2
	global_load_dwordx2 v[2:3], v[208:209], off offset:3768
	ds_write2_b64 v250, v[236:237], v[6:7] offset0:105 offset1:240
	v_add_u32_e32 v250, 0x5c00, v80
	ds_read2_b64 v[20:23], v250 offset0:26 offset1:161
	s_waitcnt vmcnt(0)
	v_mul_f32_e32 v6, v223, v3
	v_mul_f32_e32 v221, v222, v3
	v_fma_f32 v220, v222, v2, -v6
	v_fmac_f32_e32 v221, v223, v2
	global_load_dwordx2 v[2:3], v[24:25], off offset:2912
	s_waitcnt vmcnt(0) lgkmcnt(0)
	v_mul_f32_e32 v6, v21, v3
	v_mul_f32_e32 v7, v20, v3
	v_fma_f32 v6, v20, v2, -v6
	v_fmac_f32_e32 v7, v21, v2
	ds_write2_b64 v255, v[238:239], v[6:7] offset0:19 offset1:154
	global_load_dwordx2 v[6:7], v[16:17], off offset:2056
	global_load_dwordx2 v[20:21], v[12:13], off offset:1200
	s_waitcnt vmcnt(1)
	v_mul_f32_e32 v2, v227, v7
	v_mul_f32_e32 v3, v226, v7
	v_fma_f32 v2, v226, v6, -v2
	v_fmac_f32_e32 v3, v227, v6
	ds_read2_b64 v[6:9], v245 offset0:68 offset1:203
	s_waitcnt vmcnt(0) lgkmcnt(0)
	v_mul_f32_e32 v32, v7, v21
	v_mul_f32_e32 v33, v6, v21
	v_fma_f32 v32, v6, v20, -v32
	v_fmac_f32_e32 v33, v7, v20
	v_add_u32_e32 v6, 0x7000, v80
	ds_write2_b64 v6, v[224:225], v[32:33] offset0:61 offset1:196
	global_load_dwordx2 v[6:7], v[214:215], off offset:2160
	s_waitcnt vmcnt(0)
	v_mul_f32_e32 v20, v19, v7
	v_mul_f32_e32 v21, v18, v7
	v_fma_f32 v20, v18, v6, -v20
	v_fmac_f32_e32 v21, v19, v6
	v_add_u32_e32 v6, 0x400, v80
	ds_write2_b64 v6, v[240:241], v[20:21] offset0:7 offset1:142
	global_load_dwordx2 v[6:7], v[218:219], off offset:936
	s_waitcnt vmcnt(0)
	;; [unrolled: 8-line block ×4, first 2 shown]
	v_mul_f32_e32 v14, v235, v7
	v_mul_f32_e32 v15, v234, v7
	v_fma_f32 v14, v234, v6, -v14
	v_fmac_f32_e32 v15, v235, v6
	global_load_dwordx2 v[6:7], v[28:29], off offset:2464
	ds_write2_b64 v249, v[14:15], v[212:213] offset0:77 offset1:212
	s_waitcnt vmcnt(0)
	v_mul_f32_e32 v14, v11, v7
	v_mul_f32_e32 v15, v10, v7
	v_fma_f32 v14, v10, v6, -v14
	v_fmac_f32_e32 v15, v11, v6
	global_load_dwordx2 v[6:7], v[208:209], off offset:1608
	ds_write2_b64 v247, v[232:233], v[14:15] offset0:91 offset1:226
	s_waitcnt vmcnt(0)
	;; [unrolled: 7-line block ×3, first 2 shown]
	v_mul_f32_e32 v10, v5, v7
	v_mul_f32_e32 v11, v4, v7
	v_fma_f32 v10, v4, v6, -v10
	v_fmac_f32_e32 v11, v5, v6
	v_add_u32_e32 v4, 0x5000, v80
	ds_write2_b64 v4, v[220:221], v[10:11] offset0:5 offset1:140
	global_load_dwordx2 v[4:5], v[24:25], off offset:3992
	s_waitcnt vmcnt(0)
	v_mul_f32_e32 v6, v23, v5
	v_mul_f32_e32 v7, v22, v5
	v_fma_f32 v6, v22, v4, -v6
	v_fmac_f32_e32 v7, v23, v4
	global_load_dwordx2 v[4:5], v[16:17], off offset:3136
	ds_write2_b64 v82, v[6:7], v[26:27] offset0:33 offset1:168
	v_mov_b32_e32 v82, v248
	s_waitcnt vmcnt(0)
	v_mul_f32_e32 v6, v1, v5
	v_mul_f32_e32 v7, v0, v5
	v_fma_f32 v6, v0, v4, -v6
	v_fmac_f32_e32 v7, v1, v4
	v_add_u32_e32 v0, 0x6800, v80
	ds_write2_b64 v0, v[2:3], v[6:7] offset0:47 offset1:182
	global_load_dwordx2 v[0:1], v[12:13], off offset:2280
	s_waitcnt vmcnt(0)
	v_mul_f32_e32 v2, v9, v1
	v_mul_f32_e32 v3, v8, v1
	v_fma_f32 v2, v8, v0, -v2
	v_fmac_f32_e32 v3, v9, v0
	ds_write_b64 v80, v[2:3] offset:31320
	s_waitcnt lgkmcnt(0)
	s_barrier
	ds_read2_b64 v[4:7], v80 offset1:135
	ds_read2_b64 v[208:211], v36 offset0:14 offset1:149
	ds_read2_b64 v[236:239], v37 offset0:42 offset1:177
	;; [unrolled: 1-line block ×11, first 2 shown]
	s_waitcnt lgkmcnt(9)
	v_add_f32_e32 v16, v4, v236
	s_waitcnt lgkmcnt(6)
	v_sub_f32_e32 v34, v20, v14
	v_add_f32_e32 v16, v16, v240
	s_waitcnt lgkmcnt(5)
	v_add_f32_e32 v16, v16, v246
	s_waitcnt lgkmcnt(3)
	v_add_f32_e32 v17, v16, v0
	v_add_f32_e32 v16, v240, v246
	v_fma_f32 v16, -0.5, v16, v4
	v_sub_f32_e32 v28, v237, v1
	v_mov_b32_e32 v22, v16
	v_fmac_f32_e32 v22, 0xbf737871, v28
	v_sub_f32_e32 v29, v241, v247
	v_sub_f32_e32 v23, v236, v240
	;; [unrolled: 1-line block ×3, first 2 shown]
	v_fmac_f32_e32 v16, 0x3f737871, v28
	v_fmac_f32_e32 v22, 0xbf167918, v29
	v_add_f32_e32 v23, v23, v30
	v_fmac_f32_e32 v16, 0x3f167918, v29
	v_fmac_f32_e32 v22, 0x3e9e377a, v23
	;; [unrolled: 1-line block ×3, first 2 shown]
	v_add_f32_e32 v23, v236, v0
	v_fma_f32 v4, -0.5, v23, v4
	v_mov_b32_e32 v23, v4
	v_fmac_f32_e32 v23, 0x3f737871, v29
	v_fmac_f32_e32 v4, 0xbf737871, v29
	;; [unrolled: 1-line block ×4, first 2 shown]
	v_add_f32_e32 v28, v5, v237
	v_add_f32_e32 v28, v28, v241
	;; [unrolled: 1-line block ×3, first 2 shown]
	v_sub_f32_e32 v30, v240, v236
	v_sub_f32_e32 v31, v246, v0
	v_add_f32_e32 v29, v28, v1
	v_add_f32_e32 v28, v241, v247
	;; [unrolled: 1-line block ×3, first 2 shown]
	v_fma_f32 v31, -0.5, v28, v5
	v_sub_f32_e32 v28, v236, v0
	v_mov_b32_e32 v0, v31
	v_fmac_f32_e32 v23, 0x3e9e377a, v30
	v_fmac_f32_e32 v4, 0x3e9e377a, v30
	v_fmac_f32_e32 v0, 0x3f737871, v28
	v_sub_f32_e32 v30, v240, v246
	v_sub_f32_e32 v32, v237, v241
	;; [unrolled: 1-line block ×3, first 2 shown]
	v_fmac_f32_e32 v31, 0xbf737871, v28
	v_fmac_f32_e32 v0, 0x3f167918, v30
	v_add_f32_e32 v32, v32, v33
	v_fmac_f32_e32 v31, 0xbf167918, v30
	v_fmac_f32_e32 v0, 0x3e9e377a, v32
	;; [unrolled: 1-line block ×3, first 2 shown]
	v_add_f32_e32 v32, v237, v1
	v_fma_f32 v5, -0.5, v32, v5
	v_mov_b32_e32 v236, v5
	v_fmac_f32_e32 v236, 0xbf737871, v30
	v_fmac_f32_e32 v5, 0x3f737871, v30
	;; [unrolled: 1-line block ×4, first 2 shown]
	v_add_f32_e32 v28, v14, v10
	v_sub_f32_e32 v32, v241, v237
	v_sub_f32_e32 v1, v247, v1
	v_fma_f32 v28, -0.5, v28, v210
	v_add_f32_e32 v1, v32, v1
	s_waitcnt lgkmcnt(2)
	v_sub_f32_e32 v30, v21, v235
	v_mov_b32_e32 v32, v28
	v_fmac_f32_e32 v32, 0xbf737871, v30
	v_sub_f32_e32 v33, v15, v11
	v_sub_f32_e32 v35, v234, v10
	v_fmac_f32_e32 v28, 0x3f737871, v30
	v_fmac_f32_e32 v32, 0xbf167918, v33
	v_add_f32_e32 v34, v34, v35
	v_fmac_f32_e32 v28, 0x3f167918, v33
	v_fmac_f32_e32 v32, 0x3e9e377a, v34
	;; [unrolled: 1-line block ×3, first 2 shown]
	v_add_f32_e32 v34, v20, v234
	v_fma_f32 v34, -0.5, v34, v210
	v_mov_b32_e32 v35, v34
	v_fmac_f32_e32 v35, 0x3f737871, v33
	v_fmac_f32_e32 v34, 0xbf737871, v33
	;; [unrolled: 1-line block ×4, first 2 shown]
	v_add_f32_e32 v30, v211, v21
	v_add_f32_e32 v30, v30, v15
	;; [unrolled: 1-line block ×3, first 2 shown]
	v_fmac_f32_e32 v236, 0x3e9e377a, v1
	v_fmac_f32_e32 v5, 0x3e9e377a, v1
	v_add_f32_e32 v1, v210, v20
	v_sub_f32_e32 v210, v14, v20
	v_sub_f32_e32 v228, v10, v234
	v_add_f32_e32 v33, v30, v235
	v_add_f32_e32 v30, v15, v11
	;; [unrolled: 1-line block ×3, first 2 shown]
	v_fma_f32 v30, -0.5, v30, v211
	v_add_f32_e32 v1, v1, v14
	v_fmac_f32_e32 v35, 0x3e9e377a, v210
	v_fmac_f32_e32 v34, 0x3e9e377a, v210
	v_sub_f32_e32 v20, v20, v234
	v_mov_b32_e32 v210, v30
	v_add_f32_e32 v1, v1, v10
	v_fmac_f32_e32 v210, 0x3f737871, v20
	v_sub_f32_e32 v10, v14, v10
	v_sub_f32_e32 v14, v21, v15
	;; [unrolled: 1-line block ×3, first 2 shown]
	v_fmac_f32_e32 v30, 0xbf737871, v20
	v_fmac_f32_e32 v210, 0x3f167918, v10
	v_add_f32_e32 v14, v14, v228
	v_fmac_f32_e32 v30, 0xbf167918, v10
	v_fmac_f32_e32 v210, 0x3e9e377a, v14
	;; [unrolled: 1-line block ×3, first 2 shown]
	v_add_f32_e32 v14, v21, v235
	v_fma_f32 v14, -0.5, v14, v211
	v_mov_b32_e32 v211, v14
	v_sub_f32_e32 v15, v15, v21
	v_sub_f32_e32 v11, v11, v235
	v_fmac_f32_e32 v14, 0x3f737871, v10
	v_fmac_f32_e32 v211, 0xbf737871, v10
	v_add_f32_e32 v11, v15, v11
	v_fmac_f32_e32 v14, 0xbf167918, v20
	v_add_f32_e32 v1, v1, v234
	v_fmac_f32_e32 v211, 0x3f167918, v20
	v_fmac_f32_e32 v14, 0x3e9e377a, v11
	;; [unrolled: 1-line block ×3, first 2 shown]
	v_add_f32_e32 v228, v17, v1
	v_mul_f32_e32 v15, 0xbf737871, v14
	v_mul_f32_e32 v14, 0xbe9e377a, v14
	v_sub_f32_e32 v246, v17, v1
	v_add_f32_e32 v1, v242, v248
	v_mul_f32_e32 v10, 0xbf167918, v210
	v_mul_f32_e32 v11, 0xbf737871, v211
	v_fmac_f32_e32 v15, 0xbe9e377a, v34
	v_mul_f32_e32 v21, 0xbf167918, v30
	v_fmac_f32_e32 v14, 0x3f737871, v34
	v_mul_f32_e32 v34, 0xbf4f1bbd, v30
	v_fma_f32 v1, -0.5, v1, v6
	v_mov_b32_e32 v83, v254
	v_fmac_f32_e32 v10, 0x3f4f1bbd, v32
	v_fmac_f32_e32 v11, 0x3e9e377a, v35
	v_add_f32_e32 v254, v4, v15
	v_fmac_f32_e32 v21, 0xbf4f1bbd, v28
	v_add_f32_e32 v229, v29, v33
	v_add_f32_e32 v255, v5, v14
	v_fmac_f32_e32 v34, 0x3f167918, v28
	v_sub_f32_e32 v28, v4, v15
	v_sub_f32_e32 v247, v29, v33
	v_sub_f32_e32 v29, v5, v14
	v_sub_f32_e32 v4, v239, v3
	v_mov_b32_e32 v5, v1
	v_add_f32_e32 v230, v22, v10
	v_add_f32_e32 v252, v23, v11
	v_sub_f32_e32 v20, v22, v10
	v_sub_f32_e32 v22, v23, v11
	v_fmac_f32_e32 v5, 0xbf737871, v4
	v_sub_f32_e32 v10, v243, v249
	v_sub_f32_e32 v11, v238, v242
	;; [unrolled: 1-line block ×3, first 2 shown]
	v_fmac_f32_e32 v1, 0x3f737871, v4
	v_mul_f32_e32 v32, 0x3f167918, v32
	v_fmac_f32_e32 v5, 0xbf167918, v10
	v_add_f32_e32 v11, v11, v14
	v_fmac_f32_e32 v1, 0x3f167918, v10
	v_fmac_f32_e32 v32, 0x3f4f1bbd, v210
	;; [unrolled: 1-line block ×4, first 2 shown]
	v_add_f32_e32 v11, v238, v2
	v_mov_b32_e32 v37, v244
	v_add_f32_e32 v244, v16, v21
	v_add_f32_e32 v231, v0, v32
	v_sub_f32_e32 v30, v16, v21
	v_sub_f32_e32 v21, v0, v32
	v_add_f32_e32 v0, v6, v238
	v_fma_f32 v6, -0.5, v11, v6
	v_mov_b32_e32 v11, v6
	v_add_f32_e32 v0, v0, v242
	v_fmac_f32_e32 v11, 0x3f737871, v10
	v_fmac_f32_e32 v6, 0xbf737871, v10
	v_add_f32_e32 v10, v243, v249
	v_add_f32_e32 v0, v0, v248
	v_sub_f32_e32 v14, v242, v238
	v_sub_f32_e32 v15, v248, v2
	v_fma_f32 v10, -0.5, v10, v7
	v_add_f32_e32 v0, v0, v2
	v_fmac_f32_e32 v11, 0xbf167918, v4
	v_add_f32_e32 v14, v14, v15
	v_fmac_f32_e32 v6, 0x3f167918, v4
	v_sub_f32_e32 v2, v238, v2
	v_mov_b32_e32 v15, v10
	v_fmac_f32_e32 v11, 0x3e9e377a, v14
	v_fmac_f32_e32 v6, 0x3e9e377a, v14
	;; [unrolled: 1-line block ×3, first 2 shown]
	v_sub_f32_e32 v14, v242, v248
	v_sub_f32_e32 v16, v239, v243
	;; [unrolled: 1-line block ×3, first 2 shown]
	v_fmac_f32_e32 v10, 0xbf737871, v2
	v_fmac_f32_e32 v15, 0x3f167918, v14
	v_add_f32_e32 v16, v16, v17
	v_fmac_f32_e32 v10, 0xbf167918, v14
	ds_read2_b64 v[220:223], v251 offset0:112 offset1:247
	ds_read2_b64 v[224:227], v250 offset0:26 offset1:161
	v_add_f32_e32 v4, v7, v239
	v_fmac_f32_e32 v15, 0x3e9e377a, v16
	v_fmac_f32_e32 v10, 0x3e9e377a, v16
	v_add_f32_e32 v16, v239, v3
	v_add_f32_e32 v4, v4, v243
	v_fmac_f32_e32 v7, -0.5, v16
	ds_read2_b64 v[24:27], v245 offset0:68 offset1:203
	v_add_f32_e32 v4, v4, v249
	v_mov_b32_e32 v17, v7
	v_add_f32_e32 v4, v4, v3
	v_fmac_f32_e32 v17, 0xbf737871, v14
	v_sub_f32_e32 v16, v243, v239
	v_sub_f32_e32 v3, v249, v3
	v_fmac_f32_e32 v7, 0x3f737871, v14
	v_fmac_f32_e32 v17, 0x3f167918, v2
	v_add_f32_e32 v3, v16, v3
	v_fmac_f32_e32 v7, 0xbf167918, v2
	v_fmac_f32_e32 v17, 0x3e9e377a, v3
	;; [unrolled: 1-line block ×3, first 2 shown]
	s_waitcnt lgkmcnt(1)
	v_add_f32_e32 v3, v220, v224
	v_fma_f32 v3, -0.5, v3, v212
	s_waitcnt lgkmcnt(0)
	v_sub_f32_e32 v14, v217, v25
	v_mov_b32_e32 v16, v3
	v_add_f32_e32 v245, v31, v34
	v_sub_f32_e32 v31, v31, v34
	v_fmac_f32_e32 v16, 0xbf737871, v14
	v_sub_f32_e32 v32, v221, v225
	v_sub_f32_e32 v33, v216, v220
	;; [unrolled: 1-line block ×3, first 2 shown]
	v_fmac_f32_e32 v3, 0x3f737871, v14
	v_fmac_f32_e32 v16, 0xbf167918, v32
	v_add_f32_e32 v33, v33, v34
	v_fmac_f32_e32 v3, 0x3f167918, v32
	v_fmac_f32_e32 v16, 0x3e9e377a, v33
	;; [unrolled: 1-line block ×3, first 2 shown]
	v_add_f32_e32 v33, v216, v24
	v_fma_f32 v33, -0.5, v33, v212
	v_mov_b32_e32 v34, v33
	v_fmac_f32_e32 v34, 0x3f737871, v32
	v_fmac_f32_e32 v33, 0xbf737871, v32
	;; [unrolled: 1-line block ×4, first 2 shown]
	v_add_f32_e32 v14, v213, v217
	v_mul_f32_e32 v210, 0x3e9e377a, v211
	v_add_f32_e32 v14, v14, v221
	v_fmac_f32_e32 v210, 0x3f737871, v35
	v_add_f32_e32 v2, v212, v216
	v_add_f32_e32 v14, v14, v225
	v_add_f32_e32 v253, v236, v210
	v_sub_f32_e32 v23, v236, v210
	v_add_f32_e32 v2, v2, v220
	v_sub_f32_e32 v35, v220, v216
	v_sub_f32_e32 v210, v224, v24
	v_add_f32_e32 v32, v14, v25
	v_add_f32_e32 v14, v221, v225
	;; [unrolled: 1-line block ×4, first 2 shown]
	v_fma_f32 v14, -0.5, v14, v213
	v_add_f32_e32 v2, v2, v24
	v_fmac_f32_e32 v34, 0x3e9e377a, v35
	v_fmac_f32_e32 v33, 0x3e9e377a, v35
	v_sub_f32_e32 v24, v216, v24
	v_mov_b32_e32 v35, v14
	v_fmac_f32_e32 v35, 0x3f737871, v24
	v_sub_f32_e32 v210, v220, v224
	v_sub_f32_e32 v211, v217, v221
	;; [unrolled: 1-line block ×3, first 2 shown]
	v_fmac_f32_e32 v14, 0xbf737871, v24
	v_fmac_f32_e32 v35, 0x3f167918, v210
	v_add_f32_e32 v211, v211, v212
	v_fmac_f32_e32 v14, 0xbf167918, v210
	v_fmac_f32_e32 v35, 0x3e9e377a, v211
	;; [unrolled: 1-line block ×3, first 2 shown]
	v_add_f32_e32 v211, v217, v25
	v_fma_f32 v211, -0.5, v211, v213
	v_mov_b32_e32 v212, v211
	v_fmac_f32_e32 v212, 0xbf737871, v210
	v_sub_f32_e32 v213, v221, v217
	v_sub_f32_e32 v25, v225, v25
	v_fmac_f32_e32 v212, 0x3f167918, v24
	v_add_f32_e32 v25, v213, v25
	v_fmac_f32_e32 v211, 0x3f737871, v210
	v_fmac_f32_e32 v212, 0x3e9e377a, v25
	;; [unrolled: 1-line block ×3, first 2 shown]
	v_mul_f32_e32 v216, 0x3f167918, v16
	v_fmac_f32_e32 v211, 0x3e9e377a, v25
	v_mul_f32_e32 v24, 0xbf167918, v35
	v_mul_f32_e32 v25, 0xbf737871, v212
	v_fmac_f32_e32 v216, 0x3f4f1bbd, v35
	v_mul_f32_e32 v35, 0x3e9e377a, v212
	v_fmac_f32_e32 v24, 0x3f4f1bbd, v16
	v_fmac_f32_e32 v25, 0x3e9e377a, v34
	v_mul_f32_e32 v210, 0xbf737871, v211
	v_fmac_f32_e32 v35, 0x3f737871, v34
	v_mul_f32_e32 v34, 0xbe9e377a, v211
	v_mov_b32_e32 v36, v250
	v_add_f32_e32 v250, v5, v24
	v_fmac_f32_e32 v210, 0xbe9e377a, v33
	v_mul_f32_e32 v213, 0xbf167918, v14
	v_fmac_f32_e32 v34, 0x3f737871, v33
	v_mul_f32_e32 v33, 0xbf4f1bbd, v14
	v_sub_f32_e32 v14, v5, v24
	v_add_f32_e32 v5, v12, v8
	v_fmac_f32_e32 v213, 0xbf4f1bbd, v3
	v_fma_f32 v5, -0.5, v5, v208
	v_add_f32_e32 v248, v0, v2
	v_add_f32_e32 v242, v6, v210
	;; [unrolled: 1-line block ×4, first 2 shown]
	v_fmac_f32_e32 v33, 0x3f167918, v3
	v_sub_f32_e32 v238, v0, v2
	v_sub_f32_e32 v0, v6, v210
	;; [unrolled: 1-line block ×5, first 2 shown]
	v_mov_b32_e32 v7, v5
	v_add_f32_e32 v240, v11, v25
	v_add_f32_e32 v237, v10, v33
	v_sub_f32_e32 v16, v11, v25
	v_sub_f32_e32 v3, v10, v33
	v_fmac_f32_e32 v7, 0xbf737871, v6
	v_sub_f32_e32 v10, v13, v9
	v_sub_f32_e32 v11, v18, v12
	;; [unrolled: 1-line block ×3, first 2 shown]
	v_fmac_f32_e32 v5, 0x3f737871, v6
	v_fmac_f32_e32 v7, 0xbf167918, v10
	v_add_f32_e32 v11, v11, v24
	v_fmac_f32_e32 v5, 0x3f167918, v10
	v_fmac_f32_e32 v7, 0x3e9e377a, v11
	;; [unrolled: 1-line block ×3, first 2 shown]
	v_add_f32_e32 v11, v18, v232
	v_fma_f32 v11, -0.5, v11, v208
	v_mov_b32_e32 v24, v11
	v_add_f32_e32 v249, v4, v32
	v_sub_f32_e32 v239, v4, v32
	v_fmac_f32_e32 v24, 0x3f737871, v10
	v_sub_f32_e32 v25, v12, v18
	v_sub_f32_e32 v32, v8, v232
	v_fmac_f32_e32 v11, 0xbf737871, v10
	v_add_f32_e32 v10, v13, v9
	v_add_f32_e32 v4, v208, v18
	v_fmac_f32_e32 v24, 0xbf167918, v6
	v_add_f32_e32 v25, v25, v32
	v_fmac_f32_e32 v11, 0x3f167918, v6
	v_fma_f32 v10, -0.5, v10, v209
	v_add_f32_e32 v4, v4, v12
	v_fmac_f32_e32 v24, 0x3e9e377a, v25
	v_fmac_f32_e32 v11, 0x3e9e377a, v25
	v_sub_f32_e32 v18, v18, v232
	v_mov_b32_e32 v25, v10
	v_add_f32_e32 v4, v4, v8
	v_fmac_f32_e32 v25, 0x3f737871, v18
	v_sub_f32_e32 v8, v12, v8
	v_sub_f32_e32 v12, v19, v13
	;; [unrolled: 1-line block ×3, first 2 shown]
	v_fmac_f32_e32 v10, 0xbf737871, v18
	v_fmac_f32_e32 v25, 0x3f167918, v8
	v_add_f32_e32 v12, v12, v32
	v_fmac_f32_e32 v10, 0xbf167918, v8
	v_fmac_f32_e32 v25, 0x3e9e377a, v12
	;; [unrolled: 1-line block ×3, first 2 shown]
	v_add_f32_e32 v12, v19, v233
	v_add_f32_e32 v6, v209, v19
	v_fmac_f32_e32 v209, -0.5, v12
	v_add_f32_e32 v6, v6, v13
	v_mov_b32_e32 v12, v209
	v_add_f32_e32 v6, v6, v9
	v_fmac_f32_e32 v12, 0xbf737871, v8
	v_sub_f32_e32 v13, v13, v19
	v_sub_f32_e32 v9, v9, v233
	v_fmac_f32_e32 v209, 0x3f737871, v8
	v_fmac_f32_e32 v12, 0x3f167918, v18
	v_add_f32_e32 v9, v13, v9
	v_fmac_f32_e32 v209, 0xbf167918, v18
	v_fmac_f32_e32 v12, 0x3e9e377a, v9
	v_fmac_f32_e32 v209, 0x3e9e377a, v9
	v_add_f32_e32 v9, v222, v226
	v_add_f32_e32 v8, v214, v218
	v_fma_f32 v9, -0.5, v9, v214
	v_add_f32_e32 v8, v8, v222
	v_sub_f32_e32 v13, v219, v27
	v_mov_b32_e32 v18, v9
	v_add_f32_e32 v8, v8, v226
	v_fmac_f32_e32 v18, 0xbf737871, v13
	v_sub_f32_e32 v19, v223, v227
	v_sub_f32_e32 v32, v218, v222
	;; [unrolled: 1-line block ×3, first 2 shown]
	v_fmac_f32_e32 v9, 0x3f737871, v13
	v_add_f32_e32 v4, v4, v232
	v_add_f32_e32 v8, v8, v26
	v_fmac_f32_e32 v18, 0xbf167918, v19
	v_add_f32_e32 v32, v32, v33
	v_fmac_f32_e32 v9, 0x3f167918, v19
	v_add_f32_e32 v241, v17, v35
	v_sub_f32_e32 v17, v17, v35
	v_fmac_f32_e32 v18, 0x3e9e377a, v32
	v_fmac_f32_e32 v9, 0x3e9e377a, v32
	v_add_f32_e32 v32, v218, v26
	v_sub_f32_e32 v34, v222, v218
	v_sub_f32_e32 v35, v226, v26
	;; [unrolled: 1-line block ×3, first 2 shown]
	v_add_f32_e32 v224, v4, v8
	v_sub_f32_e32 v218, v4, v8
	s_barrier
	buffer_load_dword v4, off, s[24:27], 0 offset:484 ; 4-byte Folded Reload
	s_waitcnt vmcnt(0)
	ds_write_b128 v4, v[228:231]
	ds_write_b128 v4, v[252:255] offset:16
	ds_write_b128 v4, v[244:247] offset:32
	;; [unrolled: 1-line block ×4, first 2 shown]
	buffer_load_dword v4, off, s[24:27], 0 offset:480 ; 4-byte Folded Reload
	v_add_f32_e32 v251, v15, v216
	v_sub_f32_e32 v15, v15, v216
	s_waitcnt vmcnt(0)
	ds_write_b128 v4, v[248:251]
	ds_write_b128 v4, v[240:243] offset:16
	ds_write_b128 v4, v[236:239] offset:32
	;; [unrolled: 1-line block ×4, first 2 shown]
	buffer_load_dword v0, off, s[24:27], 0 offset:428 ; 4-byte Folded Reload
	v_fma_f32 v32, -0.5, v32, v214
	v_mov_b32_e32 v33, v32
	v_fmac_f32_e32 v33, 0x3f737871, v19
	v_fmac_f32_e32 v32, 0xbf737871, v19
	v_add_f32_e32 v19, v223, v227
	v_fmac_f32_e32 v33, 0xbf167918, v13
	v_add_f32_e32 v34, v34, v35
	v_fmac_f32_e32 v32, 0x3f167918, v13
	v_fma_f32 v19, -0.5, v19, v215
	v_fmac_f32_e32 v33, 0x3e9e377a, v34
	v_fmac_f32_e32 v32, 0x3e9e377a, v34
	v_mov_b32_e32 v34, v19
	v_fmac_f32_e32 v34, 0x3f737871, v26
	v_sub_f32_e32 v35, v222, v226
	v_sub_f32_e32 v208, v219, v223
	;; [unrolled: 1-line block ×3, first 2 shown]
	v_fmac_f32_e32 v19, 0xbf737871, v26
	v_fmac_f32_e32 v34, 0x3f167918, v35
	v_add_f32_e32 v208, v208, v210
	v_fmac_f32_e32 v19, 0xbf167918, v35
	v_add_f32_e32 v13, v215, v219
	v_fmac_f32_e32 v34, 0x3e9e377a, v208
	v_fmac_f32_e32 v19, 0x3e9e377a, v208
	v_add_f32_e32 v208, v219, v27
	v_add_f32_e32 v13, v13, v223
	v_fmac_f32_e32 v215, -0.5, v208
	v_add_f32_e32 v13, v13, v227
	v_mov_b32_e32 v208, v215
	v_add_f32_e32 v13, v13, v27
	v_fmac_f32_e32 v208, 0xbf737871, v35
	v_sub_f32_e32 v210, v223, v219
	v_sub_f32_e32 v27, v227, v27
	v_fmac_f32_e32 v215, 0x3f737871, v35
	v_fmac_f32_e32 v208, 0x3f167918, v26
	v_add_f32_e32 v27, v210, v27
	v_fmac_f32_e32 v215, 0xbf167918, v26
	v_mul_f32_e32 v26, 0xbf167918, v34
	v_fmac_f32_e32 v208, 0x3e9e377a, v27
	v_fmac_f32_e32 v26, 0x3f4f1bbd, v18
	v_mul_f32_e32 v18, 0x3f167918, v18
	v_fmac_f32_e32 v215, 0x3e9e377a, v27
	v_mul_f32_e32 v27, 0xbf737871, v208
	v_mul_f32_e32 v210, 0xbf167918, v19
	v_fmac_f32_e32 v18, 0x3f4f1bbd, v34
	v_mul_f32_e32 v34, 0x3e9e377a, v208
	v_mul_f32_e32 v19, 0xbf4f1bbd, v19
	v_add_f32_e32 v6, v6, v233
	v_fmac_f32_e32 v27, 0x3e9e377a, v33
	v_mul_f32_e32 v35, 0xbf737871, v215
	v_fmac_f32_e32 v210, 0xbf4f1bbd, v9
	v_fmac_f32_e32 v34, 0x3f737871, v33
	v_mul_f32_e32 v33, 0xbe9e377a, v215
	v_fmac_f32_e32 v19, 0x3f167918, v9
	v_add_f32_e32 v226, v7, v26
	v_fmac_f32_e32 v35, 0xbe9e377a, v32
	v_add_f32_e32 v216, v5, v210
	v_add_f32_e32 v225, v6, v13
	;; [unrolled: 1-line block ×3, first 2 shown]
	v_fmac_f32_e32 v33, 0x3f737871, v32
	v_add_f32_e32 v217, v10, v19
	v_sub_f32_e32 v219, v6, v13
	v_add_u32_e32 v250, 0x1800, v80
	v_add_f32_e32 v220, v24, v27
	v_add_f32_e32 v222, v11, v35
	;; [unrolled: 1-line block ×4, first 2 shown]
	v_sub_f32_e32 v212, v7, v26
	v_sub_f32_e32 v214, v24, v27
	;; [unrolled: 1-line block ×8, first 2 shown]
	s_waitcnt vmcnt(0)
	ds_write_b128 v0, v[224:227]
	ds_write_b128 v0, v[220:223] offset:16
	ds_write_b128 v0, v[216:219] offset:32
	;; [unrolled: 1-line block ×4, first 2 shown]
	s_waitcnt lgkmcnt(0)
	s_barrier
	ds_read2_b64 v[216:219], v80 offset1:135
	ds_read2_b64 v[0:3], v250 offset0:42 offset1:177
	ds_read2_b64 v[4:7], v82 offset0:84 offset1:219
	v_add_u32_e32 v251, 0x4a00, v80
	v_mov_b32_e32 v253, v83
	ds_read2_b64 v[12:15], v83 offset0:40 offset1:175
	v_add_u32_e32 v249, 0x800, v80
	v_add_u32_e32 v83, 0x3800, v80
	;; [unrolled: 1-line block ×5, first 2 shown]
	ds_read2_b64 v[8:11], v251 offset0:62 offset1:197
	ds_read2_b64 v[212:215], v249 offset0:14 offset1:149
	;; [unrolled: 1-line block ×11, first 2 shown]
	buffer_load_dword v236, off, s[24:27], 0 offset:328 ; 4-byte Folded Reload
	buffer_load_dword v237, off, s[24:27], 0 offset:332 ; 4-byte Folded Reload
	;; [unrolled: 1-line block ×8, first 2 shown]
	s_waitcnt lgkmcnt(8)
	v_mul_f32_e32 v18, v65, v20
	v_fmac_f32_e32 v18, v64, v19
	v_mul_f32_e32 v244, v43, v7
	v_fmac_f32_e32 v244, v42, v6
	s_waitcnt lgkmcnt(0)
	v_mul_f32_e32 v17, v51, v233
	v_fmac_f32_e32 v17, v50, v232
	v_mov_b32_e32 v252, v38
	s_waitcnt vmcnt(6)
	v_mul_f32_e32 v35, v237, v1
	v_fmac_f32_e32 v35, v236, v0
	v_mul_f32_e32 v0, v237, v0
	v_fma_f32 v236, v236, v1, -v0
	s_waitcnt vmcnt(4)
	v_mul_f32_e32 v237, v239, v5
	v_mul_f32_e32 v0, v239, v4
	v_fmac_f32_e32 v237, v238, v4
	v_fma_f32 v238, v238, v5, -v0
	s_waitcnt vmcnt(2)
	v_mul_f32_e32 v239, v241, v9
	v_mul_f32_e32 v0, v241, v8
	v_fmac_f32_e32 v239, v240, v8
	;; [unrolled: 5-line block ×3, first 2 shown]
	v_fma_f32 v242, v242, v13, -v0
	v_mul_f32_e32 v243, v41, v3
	v_mul_f32_e32 v0, v41, v2
	v_fmac_f32_e32 v243, v40, v2
	v_fma_f32 v13, v40, v3, -v0
	buffer_load_dword v1, off, s[24:27], 0 offset:344 ; 4-byte Folded Reload
	buffer_load_dword v2, off, s[24:27], 0 offset:348 ; 4-byte Folded Reload
	;; [unrolled: 1-line block ×4, first 2 shown]
	v_mul_f32_e32 v0, v43, v6
	v_fma_f32 v16, v42, v7, -v0
	v_mul_f32_e32 v8, v71, v26
	v_fmac_f32_e32 v8, v70, v25
	v_mul_f32_e32 v6, v69, v22
	v_fmac_f32_e32 v6, v68, v21
	;; [unrolled: 2-line block ×3, first 2 shown]
	s_waitcnt vmcnt(2)
	v_mul_f32_e32 v0, v2, v10
	v_fma_f32 v246, v1, v11, -v0
	s_waitcnt vmcnt(0)
	v_mul_f32_e32 v0, v4, v14
	v_fma_f32 v248, v3, v15, -v0
	v_mul_f32_e32 v0, v65, v19
	v_mul_f32_e32 v247, v4, v15
	v_fma_f32 v5, v64, v20, -v0
	v_mul_f32_e32 v0, v67, v23
	v_mul_f32_e32 v245, v2, v11
	v_fmac_f32_e32 v247, v3, v14
	v_fma_f32 v14, v66, v24, -v0
	v_mul_f32_e32 v0, v53, v27
	v_fmac_f32_e32 v245, v1, v10
	v_fma_f32 v15, v52, v28, -v0
	v_mul_f32_e32 v0, v55, v31
	buffer_load_dword v9, off, s[24:27], 0 offset:548 ; 4-byte Folded Reload
	buffer_load_dword v10, off, s[24:27], 0 offset:552 ; 4-byte Folded Reload
	;; [unrolled: 1-line block ×4, first 2 shown]
	v_fma_f32 v19, v54, v32, -v0
	v_mul_f32_e32 v0, v69, v21
	v_mul_f32_e32 v20, v67, v24
	v_fma_f32 v1, v68, v22, -v0
	v_mul_f32_e32 v0, v71, v25
	v_fmac_f32_e32 v20, v66, v23
	v_fma_f32 v4, v70, v26, -v0
	buffer_load_dword v23, off, s[24:27], 0 offset:404 ; 4-byte Folded Reload
	buffer_load_dword v24, off, s[24:27], 0 offset:408 ; 4-byte Folded Reload
	;; [unrolled: 1-line block ×4, first 2 shown]
	v_mul_f32_e32 v64, v53, v28
	v_fmac_f32_e32 v64, v52, v27
	v_mul_f32_e32 v27, v55, v32
	v_mul_f32_e32 v2, v59, v224
	;; [unrolled: 1-line block ×4, first 2 shown]
	v_fmac_f32_e32 v27, v54, v31
	v_fma_f32 v2, v58, v225, -v2
	s_waitcnt vmcnt(0)
	s_barrier
	v_mul_f32_e32 v21, v10, v30
	v_mul_f32_e32 v0, v10, v29
	v_fmac_f32_e32 v21, v9, v29
	v_fma_f32 v65, v9, v30, -v0
	v_mul_f32_e32 v9, v59, v225
	v_mul_f32_e32 v31, v12, v34
	;; [unrolled: 1-line block ×3, first 2 shown]
	v_fmac_f32_e32 v9, v58, v224
	v_fma_f32 v10, v48, v229, -v3
	v_mul_f32_e32 v3, v51, v232
	v_fma_f32 v58, v60, v223, -v22
	v_mul_f32_e32 v22, v63, v226
	v_fmac_f32_e32 v31, v11, v33
	v_fma_f32 v66, v11, v34, -v0
	v_fma_f32 v11, v50, v233, -v3
	v_mul_f32_e32 v3, v61, v223
	v_fma_f32 v59, v62, v227, -v22
	v_mul_f32_e32 v22, v24, v230
	v_fmac_f32_e32 v3, v60, v222
	v_mul_f32_e32 v60, v63, v227
	v_fma_f32 v61, v23, v231, -v22
	v_mul_f32_e32 v22, v26, v234
	v_fmac_f32_e32 v60, v62, v226
	v_fma_f32 v62, v25, v235, -v22
	v_add_f32_e32 v22, v216, v35
	v_add_f32_e32 v22, v22, v237
	v_mul_f32_e32 v12, v49, v229
	v_add_f32_e32 v22, v22, v239
	v_fmac_f32_e32 v12, v48, v228
	v_add_f32_e32 v48, v22, v241
	v_add_f32_e32 v22, v237, v239
	v_fma_f32 v36, -0.5, v22, v216
	v_mul_f32_e32 v63, v24, v231
	v_mul_f32_e32 v67, v26, v235
	v_sub_f32_e32 v22, v236, v242
	v_mov_b32_e32 v50, v36
	v_fmac_f32_e32 v63, v23, v230
	v_fmac_f32_e32 v67, v25, v234
	;; [unrolled: 1-line block ×3, first 2 shown]
	v_sub_f32_e32 v23, v238, v240
	v_sub_f32_e32 v24, v35, v237
	;; [unrolled: 1-line block ×3, first 2 shown]
	v_fmac_f32_e32 v36, 0x3f737871, v22
	v_fmac_f32_e32 v50, 0xbf167918, v23
	v_add_f32_e32 v24, v24, v25
	v_fmac_f32_e32 v36, 0x3f167918, v23
	v_fmac_f32_e32 v50, 0x3e9e377a, v24
	;; [unrolled: 1-line block ×3, first 2 shown]
	v_add_f32_e32 v24, v35, v241
	v_fma_f32 v40, -0.5, v24, v216
	v_mov_b32_e32 v42, v40
	v_fmac_f32_e32 v42, 0x3f737871, v23
	v_fmac_f32_e32 v40, 0xbf737871, v23
	v_fmac_f32_e32 v42, 0xbf167918, v22
	v_fmac_f32_e32 v40, 0x3f167918, v22
	v_add_f32_e32 v22, v217, v236
	v_add_f32_e32 v22, v22, v238
	;; [unrolled: 1-line block ×5, first 2 shown]
	v_sub_f32_e32 v24, v237, v35
	v_sub_f32_e32 v25, v239, v241
	v_fma_f32 v37, -0.5, v22, v217
	v_add_f32_e32 v24, v24, v25
	v_sub_f32_e32 v22, v35, v241
	v_mov_b32_e32 v51, v37
	v_fmac_f32_e32 v42, 0x3e9e377a, v24
	v_fmac_f32_e32 v40, 0x3e9e377a, v24
	;; [unrolled: 1-line block ×3, first 2 shown]
	v_sub_f32_e32 v23, v237, v239
	v_sub_f32_e32 v24, v236, v238
	;; [unrolled: 1-line block ×3, first 2 shown]
	v_fmac_f32_e32 v37, 0xbf737871, v22
	v_fmac_f32_e32 v51, 0x3f167918, v23
	v_add_f32_e32 v24, v24, v25
	v_fmac_f32_e32 v37, 0xbf167918, v23
	v_fmac_f32_e32 v51, 0x3e9e377a, v24
	v_fmac_f32_e32 v37, 0x3e9e377a, v24
	v_add_f32_e32 v24, v236, v242
	v_fma_f32 v41, -0.5, v24, v217
	v_mov_b32_e32 v43, v41
	v_fmac_f32_e32 v43, 0xbf737871, v23
	v_fmac_f32_e32 v41, 0x3f737871, v23
	;; [unrolled: 1-line block ×4, first 2 shown]
	v_add_f32_e32 v22, v218, v243
	v_add_f32_e32 v22, v22, v244
	v_add_f32_e32 v22, v22, v245
	v_add_f32_e32 v54, v22, v247
	v_add_f32_e32 v22, v244, v245
	v_mul_f32_e32 v0, v57, v220
	v_sub_f32_e32 v24, v238, v236
	v_sub_f32_e32 v25, v240, v242
	v_fma_f32 v38, -0.5, v22, v218
	v_fma_f32 v0, v56, v221, -v0
	v_add_f32_e32 v24, v24, v25
	v_sub_f32_e32 v22, v13, v248
	v_mov_b32_e32 v56, v38
	v_fmac_f32_e32 v43, 0x3e9e377a, v24
	v_fmac_f32_e32 v41, 0x3e9e377a, v24
	;; [unrolled: 1-line block ×3, first 2 shown]
	v_sub_f32_e32 v23, v16, v246
	v_sub_f32_e32 v24, v243, v244
	;; [unrolled: 1-line block ×3, first 2 shown]
	v_fmac_f32_e32 v38, 0x3f737871, v22
	v_fmac_f32_e32 v56, 0xbf167918, v23
	v_add_f32_e32 v24, v24, v25
	v_fmac_f32_e32 v38, 0x3f167918, v23
	v_fmac_f32_e32 v56, 0x3e9e377a, v24
	;; [unrolled: 1-line block ×3, first 2 shown]
	v_add_f32_e32 v24, v243, v247
	v_fma_f32 v218, -0.5, v24, v218
	v_mov_b32_e32 v52, v218
	v_fmac_f32_e32 v52, 0x3f737871, v23
	v_fmac_f32_e32 v218, 0xbf737871, v23
	;; [unrolled: 1-line block ×4, first 2 shown]
	v_add_f32_e32 v22, v219, v13
	v_add_f32_e32 v22, v22, v16
	;; [unrolled: 1-line block ×5, first 2 shown]
	v_sub_f32_e32 v24, v244, v243
	v_sub_f32_e32 v25, v245, v247
	v_fma_f32 v39, -0.5, v22, v219
	v_add_f32_e32 v24, v24, v25
	v_sub_f32_e32 v22, v243, v247
	v_mov_b32_e32 v57, v39
	v_fmac_f32_e32 v52, 0x3e9e377a, v24
	v_fmac_f32_e32 v218, 0x3e9e377a, v24
	;; [unrolled: 1-line block ×3, first 2 shown]
	v_sub_f32_e32 v23, v244, v245
	v_sub_f32_e32 v24, v13, v16
	;; [unrolled: 1-line block ×3, first 2 shown]
	v_fmac_f32_e32 v39, 0xbf737871, v22
	v_fmac_f32_e32 v57, 0x3f167918, v23
	v_add_f32_e32 v24, v24, v25
	v_fmac_f32_e32 v39, 0xbf167918, v23
	v_fmac_f32_e32 v57, 0x3e9e377a, v24
	v_fmac_f32_e32 v39, 0x3e9e377a, v24
	v_add_f32_e32 v24, v13, v248
	v_fmac_f32_e32 v219, -0.5, v24
	v_mov_b32_e32 v53, v219
	v_fmac_f32_e32 v53, 0xbf737871, v23
	v_sub_f32_e32 v13, v16, v13
	v_sub_f32_e32 v16, v246, v248
	v_fmac_f32_e32 v219, 0x3f737871, v23
	v_fmac_f32_e32 v53, 0x3f167918, v22
	v_add_f32_e32 v13, v13, v16
	v_fmac_f32_e32 v219, 0xbf167918, v22
	v_fmac_f32_e32 v53, 0x3e9e377a, v13
	;; [unrolled: 1-line block ×3, first 2 shown]
	v_add_f32_e32 v13, v212, v18
	v_add_f32_e32 v13, v13, v20
	;; [unrolled: 1-line block ×5, first 2 shown]
	v_fma_f32 v22, -0.5, v13, v212
	v_sub_f32_e32 v13, v5, v19
	v_mov_b32_e32 v34, v22
	v_fmac_f32_e32 v34, 0xbf737871, v13
	v_sub_f32_e32 v16, v14, v15
	v_sub_f32_e32 v23, v18, v20
	;; [unrolled: 1-line block ×3, first 2 shown]
	v_fmac_f32_e32 v22, 0x3f737871, v13
	v_fmac_f32_e32 v34, 0xbf167918, v16
	v_add_f32_e32 v23, v23, v24
	v_fmac_f32_e32 v22, 0x3f167918, v16
	v_fmac_f32_e32 v34, 0x3e9e377a, v23
	;; [unrolled: 1-line block ×3, first 2 shown]
	v_add_f32_e32 v23, v18, v27
	v_fma_f32 v24, -0.5, v23, v212
	v_mov_b32_e32 v26, v24
	v_fmac_f32_e32 v26, 0x3f737871, v16
	v_fmac_f32_e32 v24, 0xbf737871, v16
	;; [unrolled: 1-line block ×4, first 2 shown]
	v_add_f32_e32 v13, v213, v5
	v_add_f32_e32 v13, v13, v14
	v_sub_f32_e32 v23, v20, v18
	v_sub_f32_e32 v25, v64, v27
	v_add_f32_e32 v13, v13, v15
	v_add_f32_e32 v23, v23, v25
	;; [unrolled: 1-line block ×4, first 2 shown]
	v_fmac_f32_e32 v26, 0x3e9e377a, v23
	v_fmac_f32_e32 v24, 0x3e9e377a, v23
	v_fma_f32 v23, -0.5, v13, v213
	v_sub_f32_e32 v13, v18, v27
	v_mov_b32_e32 v35, v23
	v_fmac_f32_e32 v35, 0x3f737871, v13
	v_sub_f32_e32 v16, v20, v64
	v_sub_f32_e32 v18, v5, v14
	v_sub_f32_e32 v20, v19, v15
	v_fmac_f32_e32 v23, 0xbf737871, v13
	v_fmac_f32_e32 v35, 0x3f167918, v16
	v_add_f32_e32 v18, v18, v20
	v_fmac_f32_e32 v23, 0xbf167918, v16
	v_fmac_f32_e32 v35, 0x3e9e377a, v18
	v_fmac_f32_e32 v23, 0x3e9e377a, v18
	v_add_f32_e32 v18, v5, v19
	v_fma_f32 v25, -0.5, v18, v213
	v_mov_b32_e32 v27, v25
	v_fmac_f32_e32 v27, 0xbf737871, v16
	v_sub_f32_e32 v5, v14, v5
	v_sub_f32_e32 v14, v15, v19
	v_fmac_f32_e32 v25, 0x3f737871, v16
	v_fmac_f32_e32 v27, 0x3f167918, v13
	v_add_f32_e32 v5, v5, v14
	v_fmac_f32_e32 v25, 0xbf167918, v13
	v_fmac_f32_e32 v27, 0x3e9e377a, v5
	;; [unrolled: 1-line block ×3, first 2 shown]
	v_add_f32_e32 v5, v214, v6
	v_add_f32_e32 v5, v5, v8
	;; [unrolled: 1-line block ×5, first 2 shown]
	v_fma_f32 v18, -0.5, v5, v214
	v_sub_f32_e32 v5, v1, v66
	v_mov_b32_e32 v30, v18
	v_fmac_f32_e32 v30, 0xbf737871, v5
	v_sub_f32_e32 v13, v4, v65
	v_sub_f32_e32 v14, v6, v8
	;; [unrolled: 1-line block ×3, first 2 shown]
	v_fmac_f32_e32 v18, 0x3f737871, v5
	v_fmac_f32_e32 v30, 0xbf167918, v13
	v_add_f32_e32 v14, v14, v15
	v_fmac_f32_e32 v18, 0x3f167918, v13
	v_fmac_f32_e32 v30, 0x3e9e377a, v14
	;; [unrolled: 1-line block ×3, first 2 shown]
	v_add_f32_e32 v14, v6, v31
	v_fma_f32 v214, -0.5, v14, v214
	v_mov_b32_e32 v20, v214
	v_fmac_f32_e32 v20, 0x3f737871, v13
	v_fmac_f32_e32 v214, 0xbf737871, v13
	;; [unrolled: 1-line block ×4, first 2 shown]
	v_add_f32_e32 v5, v215, v1
	v_add_f32_e32 v5, v5, v4
	;; [unrolled: 1-line block ×5, first 2 shown]
	v_fma_f32 v19, -0.5, v5, v215
	v_sub_f32_e32 v15, v21, v31
	v_sub_f32_e32 v5, v6, v31
	v_mov_b32_e32 v31, v19
	v_sub_f32_e32 v14, v8, v6
	v_fmac_f32_e32 v31, 0x3f737871, v5
	v_sub_f32_e32 v6, v8, v21
	v_sub_f32_e32 v8, v1, v4
	;; [unrolled: 1-line block ×3, first 2 shown]
	v_fmac_f32_e32 v19, 0xbf737871, v5
	v_fmac_f32_e32 v31, 0x3f167918, v6
	v_add_f32_e32 v8, v8, v13
	v_fmac_f32_e32 v19, 0xbf167918, v6
	v_fmac_f32_e32 v31, 0x3e9e377a, v8
	;; [unrolled: 1-line block ×3, first 2 shown]
	v_add_f32_e32 v8, v1, v66
	v_fmac_f32_e32 v215, -0.5, v8
	v_mov_b32_e32 v21, v215
	v_fmac_f32_e32 v21, 0xbf737871, v6
	v_sub_f32_e32 v1, v4, v1
	v_sub_f32_e32 v4, v65, v66
	v_fmac_f32_e32 v215, 0x3f737871, v6
	v_fmac_f32_e32 v21, 0x3f167918, v5
	v_add_f32_e32 v1, v1, v4
	v_fmac_f32_e32 v215, 0xbf167918, v5
	v_fmac_f32_e32 v21, 0x3e9e377a, v1
	v_fmac_f32_e32 v215, 0x3e9e377a, v1
	v_add_f32_e32 v1, v208, v7
	v_add_f32_e32 v1, v1, v9
	;; [unrolled: 1-line block ×4, first 2 shown]
	v_fmac_f32_e32 v20, 0x3e9e377a, v14
	v_fmac_f32_e32 v214, 0x3e9e377a, v14
	v_add_f32_e32 v14, v1, v17
	v_add_f32_e32 v1, v9, v12
	v_fma_f32 v4, -0.5, v1, v208
	v_sub_f32_e32 v1, v0, v11
	v_mov_b32_e32 v16, v4
	v_fmac_f32_e32 v16, 0xbf737871, v1
	v_sub_f32_e32 v5, v2, v10
	v_sub_f32_e32 v6, v7, v9
	;; [unrolled: 1-line block ×3, first 2 shown]
	v_fmac_f32_e32 v4, 0x3f737871, v1
	v_fmac_f32_e32 v16, 0xbf167918, v5
	v_add_f32_e32 v6, v6, v8
	v_fmac_f32_e32 v4, 0x3f167918, v5
	v_fmac_f32_e32 v16, 0x3e9e377a, v6
	;; [unrolled: 1-line block ×3, first 2 shown]
	v_add_f32_e32 v6, v7, v17
	v_fma_f32 v6, -0.5, v6, v208
	v_mov_b32_e32 v8, v6
	v_fmac_f32_e32 v8, 0x3f737871, v5
	v_fmac_f32_e32 v6, 0xbf737871, v5
	;; [unrolled: 1-line block ×4, first 2 shown]
	v_add_f32_e32 v1, v209, v0
	v_add_f32_e32 v1, v1, v2
	v_sub_f32_e32 v13, v9, v7
	v_sub_f32_e32 v15, v12, v17
	v_add_f32_e32 v1, v1, v10
	v_add_f32_e32 v13, v13, v15
	;; [unrolled: 1-line block ×4, first 2 shown]
	v_fma_f32 v5, -0.5, v1, v209
	v_sub_f32_e32 v1, v7, v17
	v_mov_b32_e32 v17, v5
	v_fmac_f32_e32 v17, 0x3f737871, v1
	v_sub_f32_e32 v12, v9, v12
	v_sub_f32_e32 v7, v0, v2
	;; [unrolled: 1-line block ×3, first 2 shown]
	v_fmac_f32_e32 v5, 0xbf737871, v1
	v_fmac_f32_e32 v17, 0x3f167918, v12
	v_add_f32_e32 v7, v7, v9
	v_fmac_f32_e32 v5, 0xbf167918, v12
	v_fmac_f32_e32 v17, 0x3e9e377a, v7
	;; [unrolled: 1-line block ×3, first 2 shown]
	v_add_f32_e32 v7, v0, v11
	v_fma_f32 v7, -0.5, v7, v209
	v_mov_b32_e32 v9, v7
	v_fmac_f32_e32 v9, 0xbf737871, v12
	v_sub_f32_e32 v0, v2, v0
	v_sub_f32_e32 v2, v10, v11
	v_fmac_f32_e32 v7, 0x3f737871, v12
	v_fmac_f32_e32 v9, 0x3f167918, v1
	v_add_f32_e32 v0, v0, v2
	v_fmac_f32_e32 v7, 0xbf167918, v1
	v_fmac_f32_e32 v9, 0x3e9e377a, v0
	;; [unrolled: 1-line block ×3, first 2 shown]
	v_add_f32_e32 v0, v210, v3
	v_add_f32_e32 v0, v0, v60
	;; [unrolled: 1-line block ×5, first 2 shown]
	v_fma_f32 v0, -0.5, v0, v210
	v_sub_f32_e32 v1, v58, v62
	v_mov_b32_e32 v12, v0
	v_fmac_f32_e32 v8, 0x3e9e377a, v13
	v_fmac_f32_e32 v6, 0x3e9e377a, v13
	;; [unrolled: 1-line block ×3, first 2 shown]
	v_sub_f32_e32 v11, v59, v61
	v_sub_f32_e32 v2, v3, v60
	;; [unrolled: 1-line block ×3, first 2 shown]
	v_fmac_f32_e32 v0, 0x3f737871, v1
	v_fmac_f32_e32 v12, 0xbf167918, v11
	v_add_f32_e32 v2, v2, v13
	v_fmac_f32_e32 v0, 0x3f167918, v11
	v_fmac_f32_e32 v12, 0x3e9e377a, v2
	v_fmac_f32_e32 v0, 0x3e9e377a, v2
	v_add_f32_e32 v2, v3, v67
	v_fma_f32 v210, -0.5, v2, v210
	v_mov_b32_e32 v2, v210
	v_fmac_f32_e32 v2, 0x3f737871, v11
	v_fmac_f32_e32 v210, 0xbf737871, v11
	;; [unrolled: 1-line block ×4, first 2 shown]
	v_add_f32_e32 v1, v211, v58
	v_add_f32_e32 v1, v1, v59
	;; [unrolled: 1-line block ×3, first 2 shown]
	v_sub_f32_e32 v13, v60, v3
	v_sub_f32_e32 v64, v63, v67
	v_add_f32_e32 v11, v1, v62
	v_add_f32_e32 v1, v59, v61
	;; [unrolled: 1-line block ×3, first 2 shown]
	v_fma_f32 v1, -0.5, v1, v211
	v_fmac_f32_e32 v2, 0x3e9e377a, v13
	v_fmac_f32_e32 v210, 0x3e9e377a, v13
	v_sub_f32_e32 v64, v3, v67
	v_mov_b32_e32 v13, v1
	v_fmac_f32_e32 v13, 0x3f737871, v64
	v_sub_f32_e32 v60, v60, v63
	v_sub_f32_e32 v3, v58, v59
	;; [unrolled: 1-line block ×3, first 2 shown]
	v_fmac_f32_e32 v1, 0xbf737871, v64
	v_fmac_f32_e32 v13, 0x3f167918, v60
	v_add_f32_e32 v3, v3, v63
	v_fmac_f32_e32 v1, 0xbf167918, v60
	v_fmac_f32_e32 v13, 0x3e9e377a, v3
	;; [unrolled: 1-line block ×3, first 2 shown]
	v_add_f32_e32 v3, v58, v62
	v_fmac_f32_e32 v211, -0.5, v3
	v_mov_b32_e32 v3, v211
	v_fmac_f32_e32 v3, 0xbf737871, v60
	v_sub_f32_e32 v58, v59, v58
	v_sub_f32_e32 v59, v61, v62
	v_fmac_f32_e32 v211, 0x3f737871, v60
	v_fmac_f32_e32 v3, 0x3f167918, v64
	v_add_f32_e32 v58, v58, v59
	v_fmac_f32_e32 v211, 0xbf167918, v64
	v_fmac_f32_e32 v3, 0x3e9e377a, v58
	;; [unrolled: 1-line block ×3, first 2 shown]
	buffer_load_dword v58, off, s[24:27], 0 offset:420 ; 4-byte Folded Reload
	s_waitcnt vmcnt(0)
	ds_write2_b64 v58, v[48:49], v[50:51] offset1:10
	ds_write2_b64 v58, v[42:43], v[40:41] offset0:20 offset1:30
	ds_write_b64 v58, v[36:37] offset:320
	buffer_load_dword v36, off, s[24:27], 0 offset:432 ; 4-byte Folded Reload
	s_waitcnt vmcnt(0)
	ds_write2_b64 v36, v[54:55], v[56:57] offset1:10
	ds_write2_b64 v36, v[52:53], v[218:219] offset0:20 offset1:30
	ds_write_b64 v36, v[38:39] offset:320
	;; [unrolled: 5-line block ×5, first 2 shown]
	buffer_load_dword v4, off, s[24:27], 0 offset:396 ; 4-byte Folded Reload
	v_add_u32_e32 v218, 0x2800, v80
	v_add_u32_e32 v222, 0x5400, v80
	;; [unrolled: 1-line block ×4, first 2 shown]
	s_waitcnt vmcnt(0)
	ds_write2_b64 v4, v[10:11], v[12:13] offset1:10
	ds_write2_b64 v4, v[2:3], v[210:211] offset0:20 offset1:30
	ds_write_b64 v4, v[0:1] offset:320
	s_waitcnt lgkmcnt(0)
	s_barrier
	ds_read2_b64 v[12:15], v80 offset1:135
	ds_read2_b64 v[20:23], v218 offset0:70 offset1:205
	ds_read2_b64 v[24:27], v222 offset0:12 offset1:147
	ds_read2_b64 v[16:19], v249 offset0:14 offset1:149
	ds_read2_b64 v[28:31], v82 offset0:84 offset1:219
	ds_read2_b64 v[32:35], v217 offset0:26 offset1:161
	ds_read2_b64 v[8:11], v214 offset0:28 offset1:163
	ds_read2_b64 v[36:39], v83 offset0:98 offset1:233
	ds_read2_b64 v[40:43], v253 offset0:40 offset1:175
	ds_read2_b64 v[4:7], v250 offset0:42 offset1:177
	ds_read2_b64 v[48:51], v255 offset0:112 offset1:247
	ds_read2_b64 v[52:55], v252 offset0:54 offset1:189
	ds_read2_b64 v[0:3], v81 offset0:56 offset1:191
	ds_read2_b64 v[56:59], v251 offset0:62 offset1:197
	ds_read2_b64 v[60:63], v254 offset0:68 offset1:203
	buffer_load_dword v65, off, s[24:27], 0 offset:248 ; 4-byte Folded Reload
	buffer_load_dword v66, off, s[24:27], 0 offset:252 ; 4-byte Folded Reload
	;; [unrolled: 1-line block ×4, first 2 shown]
	v_mov_b32_e32 v215, v82
	s_waitcnt vmcnt(2) lgkmcnt(13)
	v_mul_f32_e32 v64, v66, v21
	v_fmac_f32_e32 v64, v65, v20
	v_mul_f32_e32 v20, v66, v20
	v_fma_f32 v20, v65, v21, -v20
	s_waitcnt vmcnt(0) lgkmcnt(12)
	v_mul_f32_e32 v21, v68, v25
	v_fmac_f32_e32 v21, v67, v24
	v_mul_f32_e32 v24, v68, v24
	v_fma_f32 v24, v67, v25, -v24
	buffer_load_dword v65, off, s[24:27], 0 offset:264 ; 4-byte Folded Reload
	buffer_load_dword v66, off, s[24:27], 0 offset:268 ; 4-byte Folded Reload
	;; [unrolled: 1-line block ×4, first 2 shown]
	s_waitcnt vmcnt(2)
	v_mul_f32_e32 v25, v66, v23
	v_fmac_f32_e32 v25, v65, v22
	v_mul_f32_e32 v22, v66, v22
	v_fma_f32 v22, v65, v23, -v22
	s_waitcnt vmcnt(0)
	v_mul_f32_e32 v23, v68, v27
	v_fmac_f32_e32 v23, v67, v26
	v_mul_f32_e32 v26, v68, v26
	v_fma_f32 v26, v67, v27, -v26
	buffer_load_dword v65, off, s[24:27], 0 offset:280 ; 4-byte Folded Reload
	buffer_load_dword v66, off, s[24:27], 0 offset:284 ; 4-byte Folded Reload
	;; [unrolled: 1-line block ×4, first 2 shown]
	s_waitcnt vmcnt(2) lgkmcnt(10)
	v_mul_f32_e32 v27, v66, v29
	v_fmac_f32_e32 v27, v65, v28
	v_mul_f32_e32 v28, v66, v28
	v_fma_f32 v28, v65, v29, -v28
	s_waitcnt vmcnt(0) lgkmcnt(9)
	v_mul_f32_e32 v29, v68, v33
	v_fmac_f32_e32 v29, v67, v32
	v_mul_f32_e32 v32, v68, v32
	v_fma_f32 v32, v67, v33, -v32
	buffer_load_dword v65, off, s[24:27], 0 offset:296 ; 4-byte Folded Reload
	buffer_load_dword v66, off, s[24:27], 0 offset:300 ; 4-byte Folded Reload
	;; [unrolled: 1-line block ×4, first 2 shown]
	s_waitcnt vmcnt(2)
	v_mul_f32_e32 v33, v66, v31
	v_fmac_f32_e32 v33, v65, v30
	v_mul_f32_e32 v30, v66, v30
	v_fma_f32 v30, v65, v31, -v30
	s_waitcnt vmcnt(0)
	v_mul_f32_e32 v31, v68, v35
	v_fmac_f32_e32 v31, v67, v34
	v_mul_f32_e32 v34, v68, v34
	v_fma_f32 v34, v67, v35, -v34
	buffer_load_dword v66, off, s[24:27], 0 offset:360 ; 4-byte Folded Reload
	buffer_load_dword v67, off, s[24:27], 0 offset:364 ; 4-byte Folded Reload
	;; [unrolled: 1-line block ×8, first 2 shown]
	s_waitcnt vmcnt(0) lgkmcnt(0)
	s_barrier
	v_mul_f32_e32 v65, v67, v37
	v_fmac_f32_e32 v65, v66, v36
	v_mul_f32_e32 v35, v67, v36
	v_mul_f32_e32 v36, v69, v40
	v_fma_f32 v35, v66, v37, -v35
	v_mul_f32_e32 v66, v69, v41
	v_fma_f32 v67, v68, v41, -v36
	v_mul_f32_e32 v36, v209, v38
	v_fmac_f32_e32 v66, v68, v40
	v_mul_f32_e32 v68, v209, v39
	v_fma_f32 v69, v208, v39, -v36
	v_mul_f32_e32 v36, v211, v42
	v_fmac_f32_e32 v68, v208, v38
	v_fma_f32 v71, v210, v43, -v36
	v_mul_f32_e32 v208, v73, v49
	v_mul_f32_e32 v36, v73, v48
	v_fmac_f32_e32 v208, v72, v48
	v_fma_f32 v72, v72, v49, -v36
	v_mul_f32_e32 v73, v75, v53
	;; [unrolled: 4-line block ×4, first 2 shown]
	v_mul_f32_e32 v36, v79, v54
	v_mul_f32_e32 v70, v211, v43
	v_fmac_f32_e32 v77, v78, v54
	v_fma_f32 v78, v78, v55, -v36
	v_mul_f32_e32 v36, v45, v56
	v_fmac_f32_e32 v70, v210, v42
	v_fma_f32 v209, v44, v57, -v36
	v_mul_f32_e32 v210, v47, v61
	v_mul_f32_e32 v36, v47, v60
	v_fmac_f32_e32 v210, v46, v60
	v_fma_f32 v60, v46, v61, -v36
	v_mul_f32_e32 v61, v85, v59
	;; [unrolled: 4-line block ×3, first 2 shown]
	v_mul_f32_e32 v36, v87, v62
	v_mul_f32_e32 v79, v45, v57
	v_fmac_f32_e32 v85, v86, v62
	v_fma_f32 v62, v86, v63, -v36
	v_add_f32_e32 v36, v12, v64
	v_fmac_f32_e32 v79, v44, v56
	v_add_f32_e32 v56, v36, v21
	v_add_f32_e32 v36, v64, v21
	v_fma_f32 v50, -0.5, v36, v12
	v_sub_f32_e32 v12, v20, v24
	v_mov_b32_e32 v58, v50
	v_fmac_f32_e32 v58, 0xbf5db3d7, v12
	v_fmac_f32_e32 v50, 0x3f5db3d7, v12
	v_add_f32_e32 v12, v13, v20
	v_add_f32_e32 v57, v12, v24
	v_add_f32_e32 v12, v20, v24
	v_fma_f32 v51, -0.5, v12, v13
	v_sub_f32_e32 v12, v64, v21
	v_mov_b32_e32 v59, v51
	v_fmac_f32_e32 v59, 0x3f5db3d7, v12
	v_fmac_f32_e32 v51, 0xbf5db3d7, v12
	v_add_f32_e32 v12, v14, v25
	v_add_f32_e32 v52, v12, v23
	v_add_f32_e32 v12, v25, v23
	v_fma_f32 v14, -0.5, v12, v14
	v_sub_f32_e32 v12, v22, v26
	v_mov_b32_e32 v54, v14
	v_fmac_f32_e32 v54, 0xbf5db3d7, v12
	v_fmac_f32_e32 v14, 0x3f5db3d7, v12
	v_add_f32_e32 v12, v15, v22
	v_add_f32_e32 v53, v12, v26
	v_add_f32_e32 v12, v22, v26
	v_fmac_f32_e32 v15, -0.5, v12
	v_sub_f32_e32 v12, v25, v23
	v_mov_b32_e32 v55, v15
	v_fmac_f32_e32 v55, 0x3f5db3d7, v12
	v_fmac_f32_e32 v15, 0xbf5db3d7, v12
	v_add_f32_e32 v12, v16, v27
	v_add_f32_e32 v46, v12, v29
	v_add_f32_e32 v12, v27, v29
	v_fma_f32 v44, -0.5, v12, v16
	v_sub_f32_e32 v12, v28, v32
	v_mov_b32_e32 v48, v44
	v_fmac_f32_e32 v48, 0xbf5db3d7, v12
	v_fmac_f32_e32 v44, 0x3f5db3d7, v12
	v_add_f32_e32 v12, v17, v28
	v_add_f32_e32 v47, v12, v32
	v_add_f32_e32 v12, v28, v32
	v_fma_f32 v45, -0.5, v12, v17
	v_sub_f32_e32 v12, v27, v29
	v_mov_b32_e32 v49, v45
	v_fmac_f32_e32 v49, 0x3f5db3d7, v12
	v_fmac_f32_e32 v45, 0xbf5db3d7, v12
	v_add_f32_e32 v12, v18, v33
	v_add_f32_e32 v40, v12, v31
	v_add_f32_e32 v12, v33, v31
	v_fma_f32 v18, -0.5, v12, v18
	v_sub_f32_e32 v12, v30, v34
	v_mov_b32_e32 v42, v18
	v_fmac_f32_e32 v42, 0xbf5db3d7, v12
	v_fmac_f32_e32 v18, 0x3f5db3d7, v12
	v_add_f32_e32 v12, v19, v30
	v_add_f32_e32 v41, v12, v34
	v_add_f32_e32 v12, v30, v34
	v_fmac_f32_e32 v19, -0.5, v12
	v_sub_f32_e32 v12, v33, v31
	v_mov_b32_e32 v43, v19
	v_fmac_f32_e32 v43, 0x3f5db3d7, v12
	v_fmac_f32_e32 v19, 0xbf5db3d7, v12
	v_add_f32_e32 v12, v8, v65
	v_add_f32_e32 v36, v12, v66
	v_add_f32_e32 v12, v65, v66
	v_fma_f32 v34, -0.5, v12, v8
	v_sub_f32_e32 v8, v35, v67
	v_mov_b32_e32 v38, v34
	v_fmac_f32_e32 v38, 0xbf5db3d7, v8
	v_fmac_f32_e32 v34, 0x3f5db3d7, v8
	v_add_f32_e32 v8, v9, v35
	v_add_f32_e32 v37, v8, v67
	v_add_f32_e32 v8, v35, v67
	v_fma_f32 v35, -0.5, v8, v9
	v_sub_f32_e32 v8, v65, v66
	v_mov_b32_e32 v39, v35
	v_fmac_f32_e32 v39, 0x3f5db3d7, v8
	v_fmac_f32_e32 v35, 0xbf5db3d7, v8
	v_add_f32_e32 v8, v10, v68
	v_add_f32_e32 v30, v8, v70
	v_add_f32_e32 v8, v68, v70
	v_fma_f32 v10, -0.5, v8, v10
	v_sub_f32_e32 v8, v69, v71
	v_mov_b32_e32 v32, v10
	v_fmac_f32_e32 v32, 0xbf5db3d7, v8
	v_fmac_f32_e32 v10, 0x3f5db3d7, v8
	v_add_f32_e32 v8, v11, v69
	v_add_f32_e32 v31, v8, v71
	v_add_f32_e32 v8, v69, v71
	v_fmac_f32_e32 v11, -0.5, v8
	v_sub_f32_e32 v8, v68, v70
	v_mov_b32_e32 v33, v11
	v_fmac_f32_e32 v33, 0x3f5db3d7, v8
	v_fmac_f32_e32 v11, 0xbf5db3d7, v8
	v_add_f32_e32 v8, v4, v208
	v_add_f32_e32 v26, v8, v73
	v_add_f32_e32 v8, v208, v73
	v_fma_f32 v24, -0.5, v8, v4
	v_sub_f32_e32 v4, v72, v74
	v_mov_b32_e32 v28, v24
	v_fmac_f32_e32 v28, 0xbf5db3d7, v4
	v_fmac_f32_e32 v24, 0x3f5db3d7, v4
	v_add_f32_e32 v4, v5, v72
	v_add_f32_e32 v27, v4, v74
	v_add_f32_e32 v4, v72, v74
	v_fma_f32 v25, -0.5, v4, v5
	v_sub_f32_e32 v4, v208, v73
	v_mov_b32_e32 v29, v25
	v_fmac_f32_e32 v29, 0x3f5db3d7, v4
	v_fmac_f32_e32 v25, 0xbf5db3d7, v4
	v_add_f32_e32 v4, v6, v75
	v_add_f32_e32 v20, v4, v77
	v_add_f32_e32 v4, v75, v77
	v_fma_f32 v6, -0.5, v4, v6
	v_sub_f32_e32 v4, v76, v78
	v_mov_b32_e32 v22, v6
	v_fmac_f32_e32 v22, 0xbf5db3d7, v4
	v_fmac_f32_e32 v6, 0x3f5db3d7, v4
	v_add_f32_e32 v4, v7, v76
	v_add_f32_e32 v21, v4, v78
	v_add_f32_e32 v4, v76, v78
	v_fmac_f32_e32 v7, -0.5, v4
	v_sub_f32_e32 v4, v75, v77
	v_mov_b32_e32 v23, v7
	v_fmac_f32_e32 v23, 0x3f5db3d7, v4
	v_fmac_f32_e32 v7, 0xbf5db3d7, v4
	v_add_f32_e32 v4, v0, v79
	v_add_f32_e32 v12, v4, v210
	v_add_f32_e32 v4, v79, v210
	v_fma_f32 v8, -0.5, v4, v0
	v_sub_f32_e32 v0, v209, v60
	v_mov_b32_e32 v16, v8
	v_fmac_f32_e32 v16, 0xbf5db3d7, v0
	v_fmac_f32_e32 v8, 0x3f5db3d7, v0
	v_add_f32_e32 v0, v1, v209
	v_add_f32_e32 v13, v0, v60
	;; [unrolled: 1-line block ×3, first 2 shown]
	v_fma_f32 v9, -0.5, v0, v1
	v_sub_f32_e32 v0, v79, v210
	v_mov_b32_e32 v17, v9
	v_add_f32_e32 v1, v61, v85
	v_fmac_f32_e32 v17, 0x3f5db3d7, v0
	v_fmac_f32_e32 v9, 0xbf5db3d7, v0
	v_add_f32_e32 v0, v2, v61
	v_fma_f32 v2, -0.5, v1, v2
	v_sub_f32_e32 v1, v84, v62
	v_mov_b32_e32 v4, v2
	v_add_f32_e32 v5, v84, v62
	v_fmac_f32_e32 v4, 0xbf5db3d7, v1
	v_fmac_f32_e32 v2, 0x3f5db3d7, v1
	v_add_f32_e32 v1, v3, v84
	v_fmac_f32_e32 v3, -0.5, v5
	v_sub_f32_e32 v60, v61, v85
	v_mov_b32_e32 v5, v3
	v_fmac_f32_e32 v5, 0x3f5db3d7, v60
	v_fmac_f32_e32 v3, 0xbf5db3d7, v60
	buffer_load_dword v60, off, s[24:27], 0 offset:436 ; 4-byte Folded Reload
	s_waitcnt vmcnt(0)
	ds_write2_b64 v60, v[56:57], v[58:59] offset1:50
	ds_write_b64 v60, v[50:51] offset:800
	buffer_load_dword v50, off, s[24:27], 0 offset:440 ; 4-byte Folded Reload
	s_waitcnt vmcnt(0)
	ds_write2_b64 v50, v[52:53], v[54:55] offset1:50
	ds_write_b64 v50, v[14:15] offset:800
	;; [unrolled: 4-line block ×9, first 2 shown]
	buffer_load_dword v6, off, s[24:27], 0 offset:464 ; 4-byte Folded Reload
	v_add_f32_e32 v0, v0, v85
	v_add_f32_e32 v1, v1, v62
	s_waitcnt vmcnt(0)
	ds_write2_b64 v6, v[0:1], v[4:5] offset1:50
	ds_write_b64 v6, v[2:3] offset:800
	s_waitcnt lgkmcnt(0)
	s_barrier
	ds_read2_b64 v[16:19], v80 offset1:135
	ds_read2_b64 v[20:23], v218 offset0:70 offset1:205
	ds_read2_b64 v[24:27], v222 offset0:12 offset1:147
	ds_read2_b64 v[12:15], v249 offset0:14 offset1:149
	ds_read2_b64 v[28:31], v82 offset0:84 offset1:219
	ds_read2_b64 v[32:35], v217 offset0:26 offset1:161
	ds_read2_b64 v[8:11], v214 offset0:28 offset1:163
	ds_read2_b64 v[36:39], v83 offset0:98 offset1:233
	ds_read2_b64 v[40:43], v253 offset0:40 offset1:175
	ds_read2_b64 v[4:7], v250 offset0:42 offset1:177
	ds_read2_b64 v[44:47], v255 offset0:112 offset1:247
	ds_read2_b64 v[48:51], v252 offset0:54 offset1:189
	ds_read2_b64 v[0:3], v81 offset0:56 offset1:191
	ds_read2_b64 v[52:55], v251 offset0:62 offset1:197
	ds_read2_b64 v[56:59], v254 offset0:68 offset1:203
	s_waitcnt lgkmcnt(13)
	v_mul_f32_e32 v60, v89, v21
	v_fmac_f32_e32 v60, v88, v20
	v_mul_f32_e32 v20, v89, v20
	v_fma_f32 v20, v88, v21, -v20
	s_waitcnt lgkmcnt(12)
	v_mul_f32_e32 v21, v91, v25
	v_fmac_f32_e32 v21, v90, v24
	v_mul_f32_e32 v24, v91, v24
	v_fma_f32 v24, v90, v25, -v24
	v_mul_f32_e32 v25, v93, v23
	v_fmac_f32_e32 v25, v92, v22
	v_mul_f32_e32 v22, v93, v22
	v_fma_f32 v22, v92, v23, -v22
	;; [unrolled: 4-line block ×3, first 2 shown]
	s_waitcnt lgkmcnt(10)
	v_mul_f32_e32 v27, v97, v29
	v_fmac_f32_e32 v27, v96, v28
	v_mul_f32_e32 v28, v97, v28
	v_fma_f32 v28, v96, v29, -v28
	s_waitcnt lgkmcnt(9)
	v_mul_f32_e32 v29, v99, v33
	v_fmac_f32_e32 v29, v98, v32
	v_mul_f32_e32 v32, v99, v32
	v_fma_f32 v32, v98, v33, -v32
	v_mul_f32_e32 v33, v101, v31
	v_fmac_f32_e32 v33, v100, v30
	v_mul_f32_e32 v30, v101, v30
	v_fma_f32 v30, v100, v31, -v30
	v_mul_f32_e32 v31, v103, v35
	v_fmac_f32_e32 v31, v102, v34
	v_mul_f32_e32 v34, v103, v34
	s_waitcnt lgkmcnt(7)
	v_mul_f32_e32 v61, v105, v37
	v_fma_f32 v34, v102, v35, -v34
	v_fmac_f32_e32 v61, v104, v36
	v_mul_f32_e32 v35, v105, v36
	s_waitcnt lgkmcnt(6)
	v_mul_f32_e32 v36, v107, v40
	v_fma_f32 v63, v106, v41, -v36
	v_mul_f32_e32 v36, v109, v38
	v_fma_f32 v65, v108, v39, -v36
	;; [unrolled: 2-line block ×3, first 2 shown]
	s_waitcnt lgkmcnt(4)
	v_mul_f32_e32 v36, v113, v44
	v_fma_f32 v69, v112, v45, -v36
	s_waitcnt lgkmcnt(3)
	v_mul_f32_e32 v36, v115, v48
	v_fma_f32 v71, v114, v49, -v36
	v_mul_f32_e32 v36, v117, v46
	v_fma_f32 v73, v116, v47, -v36
	;; [unrolled: 2-line block ×3, first 2 shown]
	s_waitcnt lgkmcnt(1)
	v_mul_f32_e32 v36, v121, v52
	v_fma_f32 v77, v120, v53, -v36
	s_waitcnt lgkmcnt(0)
	v_mul_f32_e32 v36, v123, v56
	v_fma_f32 v79, v122, v57, -v36
	v_mul_f32_e32 v36, v125, v54
	v_fma_f32 v85, v124, v55, -v36
	v_mul_f32_e32 v36, v127, v58
	v_mul_f32_e32 v78, v123, v57
	v_fma_f32 v87, v126, v59, -v36
	v_add_f32_e32 v36, v16, v60
	v_mul_f32_e32 v74, v119, v51
	v_fmac_f32_e32 v78, v122, v56
	v_add_f32_e32 v56, v36, v21
	v_add_f32_e32 v36, v60, v21
	v_fmac_f32_e32 v74, v118, v50
	v_mul_f32_e32 v86, v127, v59
	v_fma_f32 v50, -0.5, v36, v16
	v_fmac_f32_e32 v86, v126, v58
	v_sub_f32_e32 v16, v20, v24
	v_mov_b32_e32 v58, v50
	v_fmac_f32_e32 v58, 0xbf5db3d7, v16
	v_fmac_f32_e32 v50, 0x3f5db3d7, v16
	v_add_f32_e32 v16, v17, v20
	v_add_f32_e32 v57, v16, v24
	;; [unrolled: 1-line block ×3, first 2 shown]
	v_fma_f32 v51, -0.5, v16, v17
	v_sub_f32_e32 v16, v60, v21
	v_mov_b32_e32 v59, v51
	v_fmac_f32_e32 v59, 0x3f5db3d7, v16
	v_fmac_f32_e32 v51, 0xbf5db3d7, v16
	s_barrier
	ds_write2_b64 v80, v[56:57], v[58:59] offset1:150
	ds_write_b64 v80, v[50:51] offset:2400
	buffer_load_dword v50, off, s[24:27], 0 offset:488 ; 4-byte Folded Reload
	v_mul_f32_e32 v76, v121, v53
	v_add_f32_e32 v16, v18, v25
	v_fmac_f32_e32 v76, v120, v52
	v_add_f32_e32 v52, v16, v23
	v_add_f32_e32 v16, v25, v23
	v_mul_f32_e32 v84, v125, v55
	v_fma_f32 v18, -0.5, v16, v18
	v_fmac_f32_e32 v84, v124, v54
	v_sub_f32_e32 v16, v22, v26
	v_mov_b32_e32 v54, v18
	v_fmac_f32_e32 v54, 0xbf5db3d7, v16
	v_fmac_f32_e32 v18, 0x3f5db3d7, v16
	v_add_f32_e32 v16, v19, v22
	v_add_f32_e32 v53, v16, v26
	;; [unrolled: 1-line block ×3, first 2 shown]
	v_fmac_f32_e32 v19, -0.5, v16
	v_sub_f32_e32 v16, v25, v23
	v_mov_b32_e32 v55, v19
	v_fmac_f32_e32 v55, 0x3f5db3d7, v16
	v_fmac_f32_e32 v19, 0xbf5db3d7, v16
	s_waitcnt vmcnt(0)
	ds_write2_b64 v50, v[52:53], v[54:55] offset1:150
	ds_write_b64 v50, v[18:19] offset:2400
	buffer_load_dword v18, off, s[24:27], 0 offset:492 ; 4-byte Folded Reload
	v_mul_f32_e32 v72, v117, v47
	v_add_f32_e32 v16, v12, v27
	v_mul_f32_e32 v68, v113, v45
	v_fmac_f32_e32 v72, v116, v46
	v_add_f32_e32 v46, v16, v29
	v_add_f32_e32 v16, v27, v29
	v_fmac_f32_e32 v68, v112, v44
	v_mul_f32_e32 v70, v115, v49
	v_fma_f32 v44, -0.5, v16, v12
	v_fmac_f32_e32 v70, v114, v48
	v_sub_f32_e32 v12, v28, v32
	v_mov_b32_e32 v48, v44
	v_fmac_f32_e32 v48, 0xbf5db3d7, v12
	v_fmac_f32_e32 v44, 0x3f5db3d7, v12
	v_add_f32_e32 v12, v13, v28
	v_add_f32_e32 v47, v12, v32
	;; [unrolled: 1-line block ×3, first 2 shown]
	v_fma_f32 v45, -0.5, v12, v13
	v_sub_f32_e32 v12, v27, v29
	v_mov_b32_e32 v49, v45
	v_fmac_f32_e32 v49, 0x3f5db3d7, v12
	v_fmac_f32_e32 v45, 0xbf5db3d7, v12
	s_waitcnt vmcnt(0)
	ds_write2_b64 v18, v[46:47], v[48:49] offset1:150
	ds_write_b64 v18, v[44:45] offset:2400
	buffer_load_dword v18, off, s[24:27], 0 offset:496 ; 4-byte Folded Reload
	v_mul_f32_e32 v62, v107, v41
	v_add_f32_e32 v12, v14, v33
	v_fmac_f32_e32 v62, v106, v40
	v_add_f32_e32 v40, v12, v31
	v_add_f32_e32 v12, v33, v31
	v_mul_f32_e32 v66, v111, v43
	v_fma_f32 v14, -0.5, v12, v14
	v_fmac_f32_e32 v66, v110, v42
	v_sub_f32_e32 v12, v30, v34
	v_mov_b32_e32 v42, v14
	v_fmac_f32_e32 v42, 0xbf5db3d7, v12
	v_fmac_f32_e32 v14, 0x3f5db3d7, v12
	v_add_f32_e32 v12, v15, v30
	v_add_f32_e32 v41, v12, v34
	;; [unrolled: 1-line block ×3, first 2 shown]
	v_fmac_f32_e32 v15, -0.5, v12
	v_sub_f32_e32 v12, v33, v31
	v_mov_b32_e32 v43, v15
	v_fmac_f32_e32 v43, 0x3f5db3d7, v12
	v_fmac_f32_e32 v15, 0xbf5db3d7, v12
	s_waitcnt vmcnt(0)
	ds_write2_b64 v18, v[40:41], v[42:43] offset1:150
	ds_write_b64 v18, v[14:15] offset:2400
	buffer_load_dword v14, off, s[24:27], 0 offset:500 ; 4-byte Folded Reload
	v_add_f32_e32 v12, v8, v61
	v_add_f32_e32 v36, v12, v62
	;; [unrolled: 1-line block ×3, first 2 shown]
	v_fma_f32 v35, v104, v37, -v35
	v_mul_f32_e32 v64, v109, v39
	v_fma_f32 v34, -0.5, v12, v8
	v_fmac_f32_e32 v64, v108, v38
	v_sub_f32_e32 v8, v35, v63
	v_mov_b32_e32 v38, v34
	v_fmac_f32_e32 v38, 0xbf5db3d7, v8
	v_fmac_f32_e32 v34, 0x3f5db3d7, v8
	v_add_f32_e32 v8, v9, v35
	v_add_f32_e32 v37, v8, v63
	;; [unrolled: 1-line block ×3, first 2 shown]
	v_fma_f32 v35, -0.5, v8, v9
	v_sub_f32_e32 v8, v61, v62
	v_mov_b32_e32 v39, v35
	v_fmac_f32_e32 v39, 0x3f5db3d7, v8
	v_fmac_f32_e32 v35, 0xbf5db3d7, v8
	s_waitcnt vmcnt(0)
	ds_write2_b64 v14, v[36:37], v[38:39] offset1:150
	ds_write_b64 v14, v[34:35] offset:2400
	buffer_load_dword v14, off, s[24:27], 0 offset:504 ; 4-byte Folded Reload
	v_add_f32_e32 v8, v10, v64
	v_add_f32_e32 v30, v8, v66
	;; [unrolled: 1-line block ×3, first 2 shown]
	v_fma_f32 v10, -0.5, v8, v10
	v_sub_f32_e32 v8, v65, v67
	v_mov_b32_e32 v32, v10
	v_fmac_f32_e32 v32, 0xbf5db3d7, v8
	v_fmac_f32_e32 v10, 0x3f5db3d7, v8
	v_add_f32_e32 v8, v11, v65
	v_add_f32_e32 v31, v8, v67
	v_add_f32_e32 v8, v65, v67
	v_fmac_f32_e32 v11, -0.5, v8
	v_sub_f32_e32 v8, v64, v66
	v_mov_b32_e32 v33, v11
	v_fmac_f32_e32 v33, 0x3f5db3d7, v8
	v_fmac_f32_e32 v11, 0xbf5db3d7, v8
	s_waitcnt vmcnt(0)
	ds_write2_b64 v14, v[30:31], v[32:33] offset1:150
	ds_write_b64 v14, v[10:11] offset:2400
	buffer_load_dword v10, off, s[24:27], 0 offset:508 ; 4-byte Folded Reload
	v_add_f32_e32 v8, v4, v68
	v_add_f32_e32 v26, v8, v70
	;; [unrolled: 1-line block ×3, first 2 shown]
	v_fma_f32 v24, -0.5, v8, v4
	v_sub_f32_e32 v4, v69, v71
	v_mov_b32_e32 v28, v24
	v_fmac_f32_e32 v28, 0xbf5db3d7, v4
	v_fmac_f32_e32 v24, 0x3f5db3d7, v4
	v_add_f32_e32 v4, v5, v69
	v_add_f32_e32 v27, v4, v71
	;; [unrolled: 1-line block ×3, first 2 shown]
	v_fma_f32 v25, -0.5, v4, v5
	v_sub_f32_e32 v4, v68, v70
	v_mov_b32_e32 v29, v25
	v_fmac_f32_e32 v29, 0x3f5db3d7, v4
	v_fmac_f32_e32 v25, 0xbf5db3d7, v4
	s_waitcnt vmcnt(0)
	ds_write2_b64 v10, v[26:27], v[28:29] offset1:150
	ds_write_b64 v10, v[24:25] offset:2400
	buffer_load_dword v10, off, s[24:27], 0 offset:512 ; 4-byte Folded Reload
	v_add_f32_e32 v4, v6, v72
	v_add_f32_e32 v20, v4, v74
	;; [unrolled: 1-line block ×3, first 2 shown]
	v_fma_f32 v6, -0.5, v4, v6
	v_sub_f32_e32 v4, v73, v75
	v_mov_b32_e32 v22, v6
	v_fmac_f32_e32 v22, 0xbf5db3d7, v4
	v_fmac_f32_e32 v6, 0x3f5db3d7, v4
	v_add_f32_e32 v4, v7, v73
	v_add_f32_e32 v21, v4, v75
	;; [unrolled: 1-line block ×3, first 2 shown]
	v_fmac_f32_e32 v7, -0.5, v4
	v_sub_f32_e32 v4, v72, v74
	v_mov_b32_e32 v23, v7
	v_fmac_f32_e32 v23, 0x3f5db3d7, v4
	v_fmac_f32_e32 v7, 0xbf5db3d7, v4
	s_waitcnt vmcnt(0)
	ds_write2_b64 v10, v[20:21], v[22:23] offset1:150
	ds_write_b64 v10, v[6:7] offset:2400
	buffer_load_dword v6, off, s[24:27], 0 offset:516 ; 4-byte Folded Reload
	v_add_f32_e32 v4, v0, v76
	v_add_f32_e32 v12, v4, v78
	;; [unrolled: 1-line block ×3, first 2 shown]
	v_fma_f32 v8, -0.5, v4, v0
	v_sub_f32_e32 v0, v77, v79
	v_mov_b32_e32 v16, v8
	v_fmac_f32_e32 v16, 0xbf5db3d7, v0
	v_fmac_f32_e32 v8, 0x3f5db3d7, v0
	v_add_f32_e32 v0, v1, v77
	v_add_f32_e32 v13, v0, v79
	;; [unrolled: 1-line block ×3, first 2 shown]
	v_fma_f32 v9, -0.5, v0, v1
	v_sub_f32_e32 v0, v76, v78
	v_mov_b32_e32 v17, v9
	v_fmac_f32_e32 v17, 0x3f5db3d7, v0
	v_fmac_f32_e32 v9, 0xbf5db3d7, v0
	s_waitcnt vmcnt(0)
	ds_write2_b64 v6, v[12:13], v[16:17] offset1:150
	ds_write_b64 v6, v[8:9] offset:2400
	buffer_load_dword v6, off, s[24:27], 0 offset:520 ; 4-byte Folded Reload
	v_add_f32_e32 v1, v84, v86
	v_add_f32_e32 v0, v2, v84
	v_fma_f32 v2, -0.5, v1, v2
	v_sub_f32_e32 v1, v85, v87
	v_mov_b32_e32 v4, v2
	v_add_f32_e32 v5, v85, v87
	v_fmac_f32_e32 v4, 0xbf5db3d7, v1
	v_fmac_f32_e32 v2, 0x3f5db3d7, v1
	v_add_f32_e32 v1, v3, v85
	v_fmac_f32_e32 v3, -0.5, v5
	v_sub_f32_e32 v60, v84, v86
	v_mov_b32_e32 v5, v3
	v_add_f32_e32 v0, v0, v86
	v_add_f32_e32 v1, v1, v87
	v_fmac_f32_e32 v5, 0x3f5db3d7, v60
	v_fmac_f32_e32 v3, 0xbf5db3d7, v60
	v_add_u32_e32 v91, 0x2c00, v80
	v_mov_b32_e32 v88, v83
	s_waitcnt vmcnt(0)
	ds_write2_b64 v6, v[0:1], v[4:5] offset0:16 offset1:166
	buffer_load_dword v0, off, s[24:27], 0 offset:524 ; 4-byte Folded Reload
	s_waitcnt vmcnt(0)
	ds_write_b64 v0, v[2:3] offset:31200
	s_waitcnt lgkmcnt(0)
	s_barrier
	ds_read2_b64 v[16:19], v80 offset1:135
	ds_read2_b64 v[20:23], v218 offset0:70 offset1:205
	ds_read2_b64 v[24:27], v222 offset0:12 offset1:147
	;; [unrolled: 1-line block ×6, first 2 shown]
	s_waitcnt lgkmcnt(5)
	v_mul_f32_e32 v60, v129, v21
	v_fmac_f32_e32 v60, v128, v20
	v_mul_f32_e32 v20, v129, v20
	v_fma_f32 v20, v128, v21, -v20
	s_waitcnt lgkmcnt(4)
	v_mul_f32_e32 v21, v131, v25
	v_fmac_f32_e32 v21, v130, v24
	v_mul_f32_e32 v24, v131, v24
	v_fma_f32 v24, v130, v25, -v24
	v_mul_f32_e32 v25, v133, v23
	v_fmac_f32_e32 v25, v132, v22
	v_mul_f32_e32 v22, v133, v22
	v_fma_f32 v22, v132, v23, -v22
	;; [unrolled: 4-line block ×3, first 2 shown]
	s_waitcnt lgkmcnt(2)
	v_mul_f32_e32 v27, v137, v29
	v_fmac_f32_e32 v27, v136, v28
	v_mul_f32_e32 v28, v137, v28
	v_fma_f32 v28, v136, v29, -v28
	s_waitcnt lgkmcnt(1)
	v_mul_f32_e32 v29, v139, v33
	v_fmac_f32_e32 v29, v138, v32
	v_mul_f32_e32 v32, v139, v32
	v_fma_f32 v32, v138, v33, -v32
	v_mul_f32_e32 v33, v153, v31
	v_fmac_f32_e32 v33, v152, v30
	v_mul_f32_e32 v30, v153, v30
	v_fma_f32 v30, v152, v31, -v30
	v_mul_f32_e32 v31, v155, v35
	v_fmac_f32_e32 v31, v154, v34
	v_mul_f32_e32 v34, v155, v34
	ds_read2_b64 v[36:39], v83 offset0:98 offset1:233
	ds_read2_b64 v[40:43], v253 offset0:40 offset1:175
	;; [unrolled: 1-line block ×8, first 2 shown]
	v_fma_f32 v34, v154, v35, -v34
	s_waitcnt lgkmcnt(7)
	v_mul_f32_e32 v35, v145, v37
	v_fmac_f32_e32 v35, v144, v36
	v_mul_f32_e32 v36, v145, v36
	v_fma_f32 v36, v144, v37, -v36
	s_waitcnt lgkmcnt(6)
	v_mul_f32_e32 v37, v147, v41
	v_fmac_f32_e32 v37, v146, v40
	v_mul_f32_e32 v40, v147, v40
	v_fma_f32 v40, v146, v41, -v40
	v_mul_f32_e32 v41, v141, v39
	v_fmac_f32_e32 v41, v140, v38
	v_mul_f32_e32 v38, v141, v38
	v_fma_f32 v61, v140, v39, -v38
	v_mul_f32_e32 v38, v143, v42
	v_fma_f32 v63, v142, v43, -v38
	s_waitcnt lgkmcnt(4)
	v_mul_f32_e32 v38, v149, v44
	v_fma_f32 v65, v148, v45, -v38
	s_waitcnt lgkmcnt(3)
	v_mul_f32_e32 v38, v151, v48
	v_fma_f32 v67, v150, v49, -v38
	v_mul_f32_e32 v38, v157, v46
	v_fma_f32 v69, v156, v47, -v38
	v_mul_f32_e32 v38, v159, v50
	v_fma_f32 v71, v158, v51, -v38
	s_waitcnt lgkmcnt(1)
	v_mul_f32_e32 v38, v161, v52
	v_fma_f32 v73, v160, v53, -v38
	s_waitcnt lgkmcnt(0)
	v_mul_f32_e32 v38, v163, v56
	v_fma_f32 v75, v162, v57, -v38
	v_mul_f32_e32 v38, v165, v54
	v_fma_f32 v77, v164, v55, -v38
	v_mul_f32_e32 v38, v167, v58
	v_mul_f32_e32 v62, v143, v43
	v_fma_f32 v79, v166, v59, -v38
	v_add_f32_e32 v38, v16, v60
	v_fmac_f32_e32 v62, v142, v42
	v_mul_f32_e32 v66, v151, v49
	v_add_f32_e32 v42, v38, v21
	v_add_f32_e32 v38, v60, v21
	v_fmac_f32_e32 v66, v150, v48
	v_mul_f32_e32 v70, v159, v51
	v_fma_f32 v48, -0.5, v38, v16
	v_fmac_f32_e32 v70, v158, v50
	v_sub_f32_e32 v16, v20, v24
	v_mov_b32_e32 v50, v48
	v_fmac_f32_e32 v50, 0xbf5db3d7, v16
	v_fmac_f32_e32 v48, 0x3f5db3d7, v16
	v_add_f32_e32 v16, v17, v20
	v_add_f32_e32 v43, v16, v24
	;; [unrolled: 1-line block ×3, first 2 shown]
	v_fma_f32 v49, -0.5, v16, v17
	v_sub_f32_e32 v16, v60, v21
	v_mov_b32_e32 v51, v49
	v_mul_f32_e32 v72, v161, v53
	v_fmac_f32_e32 v51, 0x3f5db3d7, v16
	v_fmac_f32_e32 v49, 0xbf5db3d7, v16
	v_add_f32_e32 v16, v18, v25
	v_fmac_f32_e32 v72, v160, v52
	v_add_f32_e32 v52, v16, v23
	v_add_f32_e32 v16, v25, v23
	v_mul_f32_e32 v76, v165, v55
	v_fma_f32 v18, -0.5, v16, v18
	v_fmac_f32_e32 v76, v164, v54
	v_sub_f32_e32 v16, v22, v26
	v_mov_b32_e32 v54, v18
	v_fmac_f32_e32 v54, 0xbf5db3d7, v16
	v_fmac_f32_e32 v18, 0x3f5db3d7, v16
	v_add_f32_e32 v16, v19, v22
	v_add_f32_e32 v53, v16, v26
	;; [unrolled: 1-line block ×3, first 2 shown]
	v_fmac_f32_e32 v19, -0.5, v16
	v_sub_f32_e32 v16, v25, v23
	v_mov_b32_e32 v55, v19
	v_mul_f32_e32 v74, v163, v57
	v_fmac_f32_e32 v55, 0x3f5db3d7, v16
	v_fmac_f32_e32 v19, 0xbf5db3d7, v16
	v_add_f32_e32 v16, v12, v27
	v_fmac_f32_e32 v74, v162, v56
	v_add_f32_e32 v56, v16, v29
	v_add_f32_e32 v16, v27, v29
	v_mul_f32_e32 v78, v167, v59
	v_fma_f32 v38, -0.5, v16, v12
	v_fmac_f32_e32 v78, v166, v58
	v_sub_f32_e32 v12, v28, v32
	v_mov_b32_e32 v58, v38
	v_fmac_f32_e32 v58, 0xbf5db3d7, v12
	v_fmac_f32_e32 v38, 0x3f5db3d7, v12
	v_add_f32_e32 v12, v13, v28
	v_add_f32_e32 v57, v12, v32
	;; [unrolled: 1-line block ×3, first 2 shown]
	v_fma_f32 v39, -0.5, v12, v13
	v_sub_f32_e32 v12, v27, v29
	v_mov_b32_e32 v59, v39
	v_fmac_f32_e32 v59, 0x3f5db3d7, v12
	v_fmac_f32_e32 v39, 0xbf5db3d7, v12
	s_barrier
	ds_write_b64 v80, v[50:51] offset:3600
	ds_write_b64 v80, v[48:49] offset:7200
	ds_write2_b64 v80, v[42:43], v[52:53] offset1:135
	ds_write_b64 v80, v[56:57] offset:2160
	ds_write2_b64 v214, v[54:55], v[58:59] offset0:73 offset1:208
	ds_write2_b64 v81, v[18:19], v[38:39] offset0:11 offset1:146
	buffer_load_dword v18, off, s[24:27], 0 offset:528 ; 4-byte Folded Reload
	v_mul_f32_e32 v64, v149, v45
	v_add_f32_e32 v12, v14, v33
	v_fmac_f32_e32 v64, v148, v44
	v_add_f32_e32 v44, v12, v31
	v_add_f32_e32 v12, v33, v31
	v_mul_f32_e32 v68, v157, v47
	v_fma_f32 v14, -0.5, v12, v14
	v_fmac_f32_e32 v68, v156, v46
	v_sub_f32_e32 v12, v30, v34
	v_mov_b32_e32 v46, v14
	v_fmac_f32_e32 v46, 0xbf5db3d7, v12
	v_fmac_f32_e32 v14, 0x3f5db3d7, v12
	v_add_f32_e32 v12, v15, v30
	v_add_f32_e32 v45, v12, v34
	;; [unrolled: 1-line block ×3, first 2 shown]
	v_fmac_f32_e32 v15, -0.5, v12
	v_sub_f32_e32 v12, v33, v31
	v_mov_b32_e32 v47, v15
	v_fmac_f32_e32 v47, 0x3f5db3d7, v12
	v_fmac_f32_e32 v15, 0xbf5db3d7, v12
	v_add_f32_e32 v12, v8, v35
	v_add_f32_e32 v32, v12, v37
	v_add_f32_e32 v12, v35, v37
	v_fma_f32 v30, -0.5, v12, v8
	v_sub_f32_e32 v8, v36, v40
	v_mov_b32_e32 v34, v30
	v_fmac_f32_e32 v34, 0xbf5db3d7, v8
	v_fmac_f32_e32 v30, 0x3f5db3d7, v8
	v_add_f32_e32 v8, v9, v36
	v_add_f32_e32 v33, v8, v40
	v_add_f32_e32 v8, v36, v40
	v_fma_f32 v31, -0.5, v8, v9
	;; [unrolled: 8-line block ×3, first 2 shown]
	v_sub_f32_e32 v8, v61, v63
	v_mov_b32_e32 v40, v10
	v_fmac_f32_e32 v40, 0xbf5db3d7, v8
	v_fmac_f32_e32 v10, 0x3f5db3d7, v8
	v_add_f32_e32 v8, v11, v61
	v_add_f32_e32 v37, v8, v63
	;; [unrolled: 1-line block ×3, first 2 shown]
	v_fmac_f32_e32 v11, -0.5, v8
	v_sub_f32_e32 v8, v41, v62
	v_mov_b32_e32 v41, v11
	v_fmac_f32_e32 v41, 0x3f5db3d7, v8
	v_fmac_f32_e32 v11, 0xbf5db3d7, v8
	s_waitcnt vmcnt(0)
	ds_write_b64 v18, v[44:45]
	ds_write_b64 v18, v[46:47] offset:3600
	ds_write_b64 v18, v[14:15] offset:7200
	ds_write2_b64 v91, v[32:33], v[36:37] offset0:32 offset1:167
	ds_write2_b64 v83, v[34:35], v[40:41] offset0:98 offset1:233
	v_add_u32_e32 v14, 0x4800, v80
	ds_write2_b64 v14, v[30:31], v[10:11] offset0:36 offset1:171
	buffer_load_dword v10, off, s[24:27], 0 offset:532 ; 4-byte Folded Reload
	v_add_f32_e32 v8, v4, v64
	v_add_f32_e32 v28, v8, v66
	;; [unrolled: 1-line block ×3, first 2 shown]
	v_fma_f32 v20, -0.5, v8, v4
	v_sub_f32_e32 v4, v65, v67
	v_mov_b32_e32 v22, v20
	v_fmac_f32_e32 v22, 0xbf5db3d7, v4
	v_fmac_f32_e32 v20, 0x3f5db3d7, v4
	v_add_f32_e32 v4, v5, v65
	v_add_f32_e32 v29, v4, v67
	v_add_f32_e32 v4, v65, v67
	v_fma_f32 v21, -0.5, v4, v5
	v_sub_f32_e32 v4, v64, v66
	v_mov_b32_e32 v23, v21
	v_fmac_f32_e32 v23, 0x3f5db3d7, v4
	v_fmac_f32_e32 v21, 0xbf5db3d7, v4
	s_waitcnt vmcnt(0)
	ds_write_b64 v10, v[28:29]
	ds_write_b64 v10, v[22:23] offset:3600
	ds_write_b64 v10, v[20:21] offset:7200
	buffer_load_dword v10, off, s[24:27], 0 offset:536 ; 4-byte Folded Reload
	v_add_f32_e32 v4, v6, v68
	v_add_f32_e32 v24, v4, v70
	;; [unrolled: 1-line block ×3, first 2 shown]
	v_fma_f32 v6, -0.5, v4, v6
	v_sub_f32_e32 v4, v69, v71
	v_mov_b32_e32 v26, v6
	v_fmac_f32_e32 v26, 0xbf5db3d7, v4
	v_fmac_f32_e32 v6, 0x3f5db3d7, v4
	v_add_f32_e32 v4, v7, v69
	v_add_f32_e32 v25, v4, v71
	;; [unrolled: 1-line block ×3, first 2 shown]
	v_fmac_f32_e32 v7, -0.5, v4
	v_sub_f32_e32 v4, v68, v70
	v_mov_b32_e32 v27, v7
	v_fmac_f32_e32 v27, 0x3f5db3d7, v4
	v_fmac_f32_e32 v7, 0xbf5db3d7, v4
	s_waitcnt vmcnt(0)
	ds_write_b64 v10, v[24:25] offset:21600
	ds_write_b64 v10, v[26:27] offset:25200
	;; [unrolled: 1-line block ×3, first 2 shown]
	buffer_load_dword v6, off, s[24:27], 0 offset:540 ; 4-byte Folded Reload
	v_add_f32_e32 v4, v0, v72
	v_add_f32_e32 v12, v4, v74
	;; [unrolled: 1-line block ×3, first 2 shown]
	v_fma_f32 v0, -0.5, v4, v0
	v_sub_f32_e32 v4, v73, v75
	v_mov_b32_e32 v16, v0
	v_fmac_f32_e32 v16, 0xbf5db3d7, v4
	v_fmac_f32_e32 v0, 0x3f5db3d7, v4
	v_add_f32_e32 v4, v1, v73
	v_add_f32_e32 v13, v4, v75
	;; [unrolled: 1-line block ×3, first 2 shown]
	v_fma_f32 v1, -0.5, v4, v1
	v_sub_f32_e32 v4, v72, v74
	v_mov_b32_e32 v17, v1
	v_fmac_f32_e32 v17, 0x3f5db3d7, v4
	v_fmac_f32_e32 v1, 0xbf5db3d7, v4
	s_waitcnt vmcnt(0)
	ds_write_b64 v6, v[12:13] offset:21600
	ds_write_b64 v6, v[16:17] offset:25200
	;; [unrolled: 1-line block ×3, first 2 shown]
	buffer_load_dword v0, off, s[24:27], 0 offset:544 ; 4-byte Folded Reload
	v_add_f32_e32 v5, v76, v78
	v_add_f32_e32 v4, v2, v76
	v_fma_f32 v2, -0.5, v5, v2
	v_sub_f32_e32 v5, v77, v79
	v_mov_b32_e32 v8, v2
	v_add_f32_e32 v9, v77, v79
	v_fmac_f32_e32 v8, 0xbf5db3d7, v5
	v_fmac_f32_e32 v2, 0x3f5db3d7, v5
	v_add_f32_e32 v5, v3, v77
	v_fmac_f32_e32 v3, -0.5, v9
	v_sub_f32_e32 v60, v76, v78
	v_mov_b32_e32 v9, v3
	v_add_f32_e32 v4, v4, v78
	v_add_f32_e32 v5, v5, v79
	v_fmac_f32_e32 v9, 0x3f5db3d7, v60
	v_fmac_f32_e32 v3, 0xbf5db3d7, v60
	s_waitcnt vmcnt(0)
	ds_write_b64 v0, v[4:5] offset:21600
	ds_write_b64 v0, v[8:9] offset:25200
	ds_write_b64 v0, v[2:3] offset:28800
	s_waitcnt lgkmcnt(0)
	s_barrier
	ds_read2_b64 v[16:19], v80 offset1:135
	ds_read2_b64 v[20:23], v218 offset0:70 offset1:205
	ds_read2_b64 v[24:27], v222 offset0:12 offset1:147
	ds_read2_b64 v[12:15], v249 offset0:14 offset1:149
	ds_read2_b64 v[28:31], v215 offset0:84 offset1:219
	ds_read2_b64 v[32:35], v217 offset0:26 offset1:161
	ds_read2_b64 v[8:11], v214 offset0:28 offset1:163
	ds_read2_b64 v[36:39], v83 offset0:98 offset1:233
	ds_read2_b64 v[40:43], v253 offset0:40 offset1:175
	ds_read2_b64 v[4:7], v250 offset0:42 offset1:177
	ds_read2_b64 v[44:47], v255 offset0:112 offset1:247
	ds_read2_b64 v[48:51], v252 offset0:54 offset1:189
	ds_read2_b64 v[0:3], v81 offset0:56 offset1:191
	ds_read2_b64 v[52:55], v251 offset0:62 offset1:197
	ds_read2_b64 v[56:59], v254 offset0:68 offset1:203
	s_waitcnt lgkmcnt(13)
	v_mul_f32_e32 v60, v169, v21
	v_fmac_f32_e32 v60, v168, v20
	v_mul_f32_e32 v20, v169, v20
	v_fma_f32 v20, v168, v21, -v20
	s_waitcnt lgkmcnt(12)
	v_mul_f32_e32 v21, v171, v25
	v_fmac_f32_e32 v21, v170, v24
	v_mul_f32_e32 v24, v171, v24
	v_fma_f32 v24, v170, v25, -v24
	v_mul_f32_e32 v25, v173, v23
	v_fmac_f32_e32 v25, v172, v22
	v_mul_f32_e32 v22, v173, v22
	v_fma_f32 v22, v172, v23, -v22
	;; [unrolled: 4-line block ×3, first 2 shown]
	s_waitcnt lgkmcnt(10)
	v_mul_f32_e32 v27, v177, v29
	v_fmac_f32_e32 v27, v176, v28
	v_mul_f32_e32 v28, v177, v28
	v_fma_f32 v28, v176, v29, -v28
	s_waitcnt lgkmcnt(9)
	v_mul_f32_e32 v29, v179, v33
	v_fmac_f32_e32 v29, v178, v32
	v_mul_f32_e32 v32, v179, v32
	v_fma_f32 v32, v178, v33, -v32
	v_mul_f32_e32 v33, v181, v31
	v_fmac_f32_e32 v33, v180, v30
	v_mul_f32_e32 v30, v181, v30
	v_fma_f32 v30, v180, v31, -v30
	;; [unrolled: 4-line block ×3, first 2 shown]
	s_waitcnt lgkmcnt(7)
	v_mul_f32_e32 v35, v185, v37
	v_fmac_f32_e32 v35, v184, v36
	v_mul_f32_e32 v36, v185, v36
	v_fma_f32 v37, v184, v37, -v36
	s_waitcnt lgkmcnt(6)
	v_mul_f32_e32 v36, v187, v40
	v_fma_f32 v62, v186, v41, -v36
	v_mul_f32_e32 v36, v189, v38
	v_fma_f32 v64, v188, v39, -v36
	;; [unrolled: 2-line block ×3, first 2 shown]
	s_waitcnt lgkmcnt(4)
	v_mul_f32_e32 v36, v193, v44
	v_fma_f32 v68, v192, v45, -v36
	s_waitcnt lgkmcnt(3)
	v_mul_f32_e32 v36, v195, v48
	v_fma_f32 v70, v194, v49, -v36
	v_mul_f32_e32 v36, v197, v46
	v_fma_f32 v72, v196, v47, -v36
	;; [unrolled: 2-line block ×3, first 2 shown]
	s_waitcnt lgkmcnt(1)
	v_mul_f32_e32 v36, v201, v52
	v_fma_f32 v76, v200, v53, -v36
	s_waitcnt lgkmcnt(0)
	v_mul_f32_e32 v36, v203, v56
	v_fma_f32 v78, v202, v57, -v36
	v_mul_f32_e32 v36, v205, v54
	v_fma_f32 v82, v204, v55, -v36
	v_mul_f32_e32 v36, v207, v58
	v_mul_f32_e32 v67, v193, v45
	v_fma_f32 v84, v206, v59, -v36
	v_add_f32_e32 v36, v16, v60
	v_fmac_f32_e32 v67, v192, v44
	v_mul_f32_e32 v73, v199, v51
	v_add_f32_e32 v44, v36, v21
	v_add_f32_e32 v36, v60, v21
	v_fmac_f32_e32 v73, v198, v50
	v_mul_f32_e32 v75, v201, v53
	v_fma_f32 v50, -0.5, v36, v16
	v_fmac_f32_e32 v75, v200, v52
	v_sub_f32_e32 v16, v20, v24
	v_mov_b32_e32 v52, v50
	v_fmac_f32_e32 v52, 0xbf5db3d7, v16
	v_fmac_f32_e32 v50, 0x3f5db3d7, v16
	v_add_f32_e32 v16, v17, v20
	v_add_f32_e32 v45, v16, v24
	;; [unrolled: 1-line block ×3, first 2 shown]
	v_fma_f32 v51, -0.5, v16, v17
	v_sub_f32_e32 v16, v60, v21
	v_mov_b32_e32 v53, v51
	v_mul_f32_e32 v79, v205, v55
	v_fmac_f32_e32 v53, 0x3f5db3d7, v16
	v_fmac_f32_e32 v51, 0xbf5db3d7, v16
	v_add_f32_e32 v16, v18, v25
	v_fmac_f32_e32 v79, v204, v54
	v_add_f32_e32 v54, v16, v23
	v_add_f32_e32 v16, v25, v23
	v_mul_f32_e32 v77, v203, v57
	v_fma_f32 v18, -0.5, v16, v18
	v_fmac_f32_e32 v77, v202, v56
	v_sub_f32_e32 v16, v22, v26
	v_mov_b32_e32 v56, v18
	v_fmac_f32_e32 v56, 0xbf5db3d7, v16
	v_fmac_f32_e32 v18, 0x3f5db3d7, v16
	v_add_f32_e32 v16, v19, v22
	v_add_f32_e32 v55, v16, v26
	v_add_f32_e32 v16, v22, v26
	v_fmac_f32_e32 v19, -0.5, v16
	v_sub_f32_e32 v16, v25, v23
	v_mov_b32_e32 v57, v19
	v_mul_f32_e32 v63, v189, v39
	v_fmac_f32_e32 v57, 0x3f5db3d7, v16
	v_fmac_f32_e32 v19, 0xbf5db3d7, v16
	v_add_f32_e32 v16, v12, v27
	v_fmac_f32_e32 v63, v188, v38
	v_mul_f32_e32 v71, v197, v47
	v_add_f32_e32 v38, v16, v29
	v_add_f32_e32 v16, v27, v29
	v_fmac_f32_e32 v71, v196, v46
	v_mul_f32_e32 v83, v207, v59
	v_fma_f32 v46, -0.5, v16, v12
	v_fmac_f32_e32 v83, v206, v58
	v_sub_f32_e32 v12, v28, v32
	v_mov_b32_e32 v58, v46
	v_fmac_f32_e32 v58, 0xbf5db3d7, v12
	v_fmac_f32_e32 v46, 0x3f5db3d7, v12
	v_add_f32_e32 v12, v13, v28
	v_add_f32_e32 v39, v12, v32
	;; [unrolled: 1-line block ×3, first 2 shown]
	v_fma_f32 v47, -0.5, v12, v13
	v_sub_f32_e32 v12, v27, v29
	v_mov_b32_e32 v59, v47
	v_mul_f32_e32 v61, v187, v41
	v_fmac_f32_e32 v59, 0x3f5db3d7, v12
	v_fmac_f32_e32 v47, 0xbf5db3d7, v12
	v_add_f32_e32 v12, v14, v33
	v_fmac_f32_e32 v61, v186, v40
	v_add_f32_e32 v40, v12, v31
	v_add_f32_e32 v12, v33, v31
	v_mul_f32_e32 v65, v191, v43
	v_fma_f32 v14, -0.5, v12, v14
	v_fmac_f32_e32 v65, v190, v42
	v_sub_f32_e32 v12, v30, v34
	v_mov_b32_e32 v42, v14
	v_fmac_f32_e32 v42, 0xbf5db3d7, v12
	v_fmac_f32_e32 v14, 0x3f5db3d7, v12
	v_add_f32_e32 v12, v15, v30
	v_add_f32_e32 v41, v12, v34
	;; [unrolled: 1-line block ×3, first 2 shown]
	v_fmac_f32_e32 v15, -0.5, v12
	v_sub_f32_e32 v12, v33, v31
	v_mov_b32_e32 v43, v15
	v_fmac_f32_e32 v43, 0x3f5db3d7, v12
	v_fmac_f32_e32 v15, 0xbf5db3d7, v12
	v_add_f32_e32 v12, v8, v35
	v_add_f32_e32 v24, v12, v61
	;; [unrolled: 1-line block ×3, first 2 shown]
	v_mul_f32_e32 v69, v195, v49
	v_fma_f32 v36, -0.5, v12, v8
	v_fmac_f32_e32 v69, v194, v48
	v_sub_f32_e32 v8, v37, v62
	v_mov_b32_e32 v48, v36
	v_fmac_f32_e32 v48, 0xbf5db3d7, v8
	v_fmac_f32_e32 v36, 0x3f5db3d7, v8
	v_add_f32_e32 v8, v9, v37
	v_add_f32_e32 v25, v8, v62
	;; [unrolled: 1-line block ×3, first 2 shown]
	v_fma_f32 v37, -0.5, v8, v9
	v_sub_f32_e32 v8, v35, v61
	v_mov_b32_e32 v49, v37
	v_fmac_f32_e32 v49, 0x3f5db3d7, v8
	v_fmac_f32_e32 v37, 0xbf5db3d7, v8
	v_add_f32_e32 v8, v10, v63
	v_add_f32_e32 v30, v8, v65
	;; [unrolled: 1-line block ×3, first 2 shown]
	v_fma_f32 v10, -0.5, v8, v10
	v_sub_f32_e32 v9, v64, v66
	v_mov_b32_e32 v8, v10
	v_fmac_f32_e32 v8, 0xbf5db3d7, v9
	v_fmac_f32_e32 v10, 0x3f5db3d7, v9
	v_add_f32_e32 v9, v11, v64
	v_add_f32_e32 v31, v9, v66
	;; [unrolled: 1-line block ×3, first 2 shown]
	v_fmac_f32_e32 v11, -0.5, v9
	v_sub_f32_e32 v12, v63, v65
	v_mov_b32_e32 v9, v11
	v_add_f32_e32 v13, v67, v69
	v_fmac_f32_e32 v9, 0x3f5db3d7, v12
	v_fmac_f32_e32 v11, 0xbf5db3d7, v12
	v_add_f32_e32 v12, v4, v67
	v_fma_f32 v4, -0.5, v13, v4
	v_sub_f32_e32 v13, v68, v70
	v_mov_b32_e32 v16, v4
	v_add_f32_e32 v17, v68, v70
	v_fmac_f32_e32 v16, 0xbf5db3d7, v13
	v_fmac_f32_e32 v4, 0x3f5db3d7, v13
	v_add_f32_e32 v13, v5, v68
	v_fma_f32 v5, -0.5, v17, v5
	v_sub_f32_e32 v20, v67, v69
	v_mov_b32_e32 v17, v5
	v_fmac_f32_e32 v17, 0x3f5db3d7, v20
	v_fmac_f32_e32 v5, 0xbf5db3d7, v20
	v_add_f32_e32 v20, v6, v71
	v_add_f32_e32 v22, v20, v73
	;; [unrolled: 1-line block ×3, first 2 shown]
	v_fma_f32 v6, -0.5, v20, v6
	v_sub_f32_e32 v21, v72, v74
	v_mov_b32_e32 v20, v6
	v_fmac_f32_e32 v20, 0xbf5db3d7, v21
	v_fmac_f32_e32 v6, 0x3f5db3d7, v21
	v_add_f32_e32 v21, v7, v72
	v_add_f32_e32 v23, v21, v74
	;; [unrolled: 1-line block ×3, first 2 shown]
	v_fmac_f32_e32 v7, -0.5, v21
	v_sub_f32_e32 v26, v71, v73
	v_mov_b32_e32 v21, v7
	v_add_f32_e32 v27, v75, v77
	v_fmac_f32_e32 v21, 0x3f5db3d7, v26
	v_fmac_f32_e32 v7, 0xbf5db3d7, v26
	v_add_f32_e32 v26, v0, v75
	v_fma_f32 v0, -0.5, v27, v0
	v_sub_f32_e32 v27, v76, v78
	v_mov_b32_e32 v28, v0
	v_add_f32_e32 v29, v76, v78
	v_fmac_f32_e32 v28, 0xbf5db3d7, v27
	v_fmac_f32_e32 v0, 0x3f5db3d7, v27
	v_add_f32_e32 v27, v1, v76
	v_fma_f32 v1, -0.5, v29, v1
	v_sub_f32_e32 v32, v75, v77
	v_mov_b32_e32 v29, v1
	v_add_f32_e32 v33, v79, v83
	ds_write_b64 v80, v[52:53] offset:10800
	ds_write_b64 v80, v[50:51] offset:21600
	ds_write2_b64 v80, v[44:45], v[54:55] offset1:135
	ds_write2_b64 v91, v[56:57], v[58:59] offset0:77 offset1:212
	v_add_u32_e32 v44, 0x5800, v80
	v_fmac_f32_e32 v29, 0x3f5db3d7, v32
	v_fmac_f32_e32 v1, 0xbf5db3d7, v32
	v_add_f32_e32 v32, v2, v79
	v_fma_f32 v2, -0.5, v33, v2
	ds_write2_b64 v44, v[18:19], v[46:47] offset0:19 offset1:154
	ds_write2_b64 v249, v[38:39], v[40:41] offset0:14 offset1:149
	v_add_u32_e32 v19, 0x3400, v80
	v_sub_f32_e32 v33, v82, v84
	v_mov_b32_e32 v34, v2
	v_add_f32_e32 v35, v82, v84
	ds_write2_b64 v19, v[42:43], v[48:49] offset0:91 offset1:226
	v_add_u32_e32 v19, 0x6000, v80
	v_fmac_f32_e32 v34, 0xbf5db3d7, v33
	v_fmac_f32_e32 v2, 0x3f5db3d7, v33
	v_add_f32_e32 v33, v3, v82
	v_fmac_f32_e32 v3, -0.5, v35
	ds_write2_b64 v19, v[14:15], v[36:37] offset0:33 offset1:168
	ds_write2_b64 v214, v[24:25], v[30:31] offset0:28 offset1:163
	ds_write_b64 v80, v[10:11] offset:27000
	v_add_u32_e32 v10, 0x3c00, v80
	v_add_f32_e32 v12, v12, v69
	v_add_f32_e32 v13, v13, v70
	v_sub_f32_e32 v60, v79, v83
	v_mov_b32_e32 v35, v3
	ds_write2_b64 v10, v[8:9], v[16:17] offset0:105 offset1:240
	ds_write2_b64 v250, v[12:13], v[22:23] offset0:42 offset1:177
	;; [unrolled: 1-line block ×3, first 2 shown]
	v_add_u32_e32 v4, 0x4400, v80
	v_add_f32_e32 v26, v26, v77
	v_add_f32_e32 v27, v27, v78
	;; [unrolled: 1-line block ×4, first 2 shown]
	v_fmac_f32_e32 v35, 0x3f5db3d7, v60
	v_fmac_f32_e32 v3, 0xbf5db3d7, v60
	ds_write2_b64 v4, v[20:21], v[28:29] offset0:119 offset1:254
	ds_write2_b64 v81, v[26:27], v[32:33] offset0:56 offset1:191
	ds_write_b64 v80, v[34:35] offset:20520
	ds_write2_b64 v254, v[0:1], v[2:3] offset0:68 offset1:203
	s_waitcnt lgkmcnt(0)
	s_barrier
	ds_read2_b64 v[10:13], v80 offset1:135
	buffer_load_dword v1, off, s[24:27], 0 offset:232 ; 4-byte Folded Reload
	buffer_load_dword v2, off, s[24:27], 0 offset:236 ; 4-byte Folded Reload
	;; [unrolled: 1-line block ×3, first 2 shown]
	v_mov_b32_e32 v6, s13
	v_mov_b32_e32 v30, 0xffff9250
	s_waitcnt vmcnt(1) lgkmcnt(0)
	v_mul_f32_e32 v0, v2, v11
	v_fmac_f32_e32 v0, v1, v10
	v_mov_b32_e32 v3, v2
	v_mov_b32_e32 v2, v1
	v_cvt_f64_f32_e32 v[0:1], v0
	v_mul_f64 v[0:1], v[0:1], s[2:3]
	v_cvt_f32_f64_e32 v0, v[0:1]
	v_mul_f32_e32 v1, v3, v10
	v_fma_f32 v1, v2, v11, -v1
	v_cvt_f64_f32_e32 v[1:2], v1
	v_mul_f64 v[1:2], v[1:2], s[2:3]
	v_cvt_f32_f64_e32 v1, v[1:2]
	s_waitcnt vmcnt(0)
	v_mad_u64_u32 v[2:3], s[4:5], s0, v4, 0
	v_mad_u64_u32 v[3:4], s[4:5], s1, v4, v[3:4]
	buffer_load_dword v4, off, s[24:27], 0 offset:144 ; 4-byte Folded Reload
	buffer_load_dword v5, off, s[24:27], 0 offset:148 ; 4-byte Folded Reload
	s_mul_i32 s4, s1, 0xca8
	v_lshlrev_b64 v[2:3], 3, v[2:3]
	s_mul_hi_u32 s5, s0, 0xca8
	s_add_i32 s4, s5, s4
	s_mul_i32 s5, s0, 0xca8
	s_mulk_i32 s1, 0x9250
	s_sub_i32 s1, s1, s0
	s_waitcnt vmcnt(0)
	v_lshlrev_b64 v[4:5], 3, v[4:5]
	v_add_co_u32_e32 v4, vcc, s12, v4
	v_addc_co_u32_e32 v5, vcc, v6, v5, vcc
	v_add_co_u32_e32 v4, vcc, v4, v2
	v_addc_co_u32_e32 v5, vcc, v5, v3, vcc
	global_store_dwordx2 v[4:5], v[0:1], off
	ds_read2_b64 v[0:3], v249 offset0:14 offset1:149
	buffer_load_dword v7, off, s[24:27], 0 offset:224 ; 4-byte Folded Reload
	buffer_load_dword v8, off, s[24:27], 0 offset:228 ; 4-byte Folded Reload
	ds_read2_b64 v[14:17], v250 offset0:42 offset1:177
	s_waitcnt vmcnt(0) lgkmcnt(1)
	v_mul_f32_e32 v6, v8, v3
	v_mov_b32_e32 v9, v8
	v_fmac_f32_e32 v6, v7, v2
	v_mov_b32_e32 v8, v7
	v_mul_f32_e32 v2, v9, v2
	v_fma_f32 v2, v8, v3, -v2
	v_cvt_f64_f32_e32 v[6:7], v6
	v_cvt_f64_f32_e32 v[2:3], v2
	v_mul_f64 v[6:7], v[6:7], s[2:3]
	v_mul_f64 v[2:3], v[2:3], s[2:3]
	v_cvt_f32_f64_e32 v6, v[6:7]
	v_cvt_f32_f64_e32 v7, v[2:3]
	v_add_co_u32_e32 v2, vcc, s5, v4
	v_mov_b32_e32 v3, s4
	v_addc_co_u32_e32 v3, vcc, v5, v3, vcc
	global_store_dwordx2 v[2:3], v[6:7], off
	buffer_load_dword v5, off, s[24:27], 0 offset:216 ; 4-byte Folded Reload
	s_nop 0
	buffer_load_dword v6, off, s[24:27], 0 offset:220 ; 4-byte Folded Reload
	s_waitcnt vmcnt(0) lgkmcnt(0)
	v_mul_f32_e32 v4, v6, v15
	v_fmac_f32_e32 v4, v5, v14
	v_mov_b32_e32 v7, v6
	v_mov_b32_e32 v6, v5
	v_cvt_f64_f32_e32 v[4:5], v4
	v_mul_f64 v[4:5], v[4:5], s[2:3]
	v_cvt_f32_f64_e32 v4, v[4:5]
	v_mul_f32_e32 v5, v7, v14
	v_fma_f32 v5, v6, v15, -v5
	v_cvt_f64_f32_e32 v[5:6], v5
	v_mul_f64 v[5:6], v[5:6], s[2:3]
	v_cvt_f32_f64_e32 v5, v[5:6]
	v_add_co_u32_e32 v6, vcc, s5, v2
	v_mov_b32_e32 v2, s4
	v_addc_co_u32_e32 v7, vcc, v3, v2, vcc
	global_store_dwordx2 v[6:7], v[4:5], off
	ds_read2_b64 v[2:5], v81 offset0:56 offset1:191
	buffer_load_dword v9, off, s[24:27], 0 offset:208 ; 4-byte Folded Reload
	buffer_load_dword v10, off, s[24:27], 0 offset:212 ; 4-byte Folded Reload
	ds_read2_b64 v[18:21], v215 offset0:84 offset1:219
	s_waitcnt vmcnt(0) lgkmcnt(1)
	v_mul_f32_e32 v8, v10, v5
	v_mov_b32_e32 v11, v10
	v_fmac_f32_e32 v8, v9, v4
	v_mov_b32_e32 v10, v9
	v_mul_f32_e32 v4, v11, v4
	v_fma_f32 v4, v10, v5, -v4
	v_cvt_f64_f32_e32 v[8:9], v8
	v_cvt_f64_f32_e32 v[4:5], v4
	v_mul_f64 v[8:9], v[8:9], s[2:3]
	v_mul_f64 v[4:5], v[4:5], s[2:3]
	v_cvt_f32_f64_e32 v8, v[8:9]
	v_cvt_f32_f64_e32 v9, v[4:5]
	v_add_co_u32_e32 v4, vcc, s5, v6
	v_mov_b32_e32 v5, s4
	v_addc_co_u32_e32 v5, vcc, v7, v5, vcc
	global_store_dwordx2 v[4:5], v[8:9], off
	buffer_load_dword v7, off, s[24:27], 0 offset:200 ; 4-byte Folded Reload
	s_nop 0
	buffer_load_dword v8, off, s[24:27], 0 offset:204 ; 4-byte Folded Reload
	s_waitcnt vmcnt(0) lgkmcnt(0)
	v_mul_f32_e32 v6, v8, v19
	v_fmac_f32_e32 v6, v7, v18
	v_mov_b32_e32 v9, v8
	v_mov_b32_e32 v8, v7
	v_cvt_f64_f32_e32 v[6:7], v6
	v_mul_f64 v[6:7], v[6:7], s[2:3]
	v_cvt_f32_f64_e32 v6, v[6:7]
	v_mul_f32_e32 v7, v9, v18
	v_fma_f32 v7, v8, v19, -v7
	v_cvt_f64_f32_e32 v[7:8], v7
	v_mul_f64 v[7:8], v[7:8], s[2:3]
	v_cvt_f32_f64_e32 v7, v[7:8]
	v_add_co_u32_e32 v8, vcc, s5, v4
	v_mov_b32_e32 v4, s4
	v_addc_co_u32_e32 v9, vcc, v5, v4, vcc
	global_store_dwordx2 v[8:9], v[6:7], off
	ds_read2_b64 v[4:7], v88 offset0:98 offset1:233
	buffer_load_dword v14, off, s[24:27], 0 offset:136 ; 4-byte Folded Reload
	buffer_load_dword v15, off, s[24:27], 0 offset:140 ; 4-byte Folded Reload
	ds_read2_b64 v[22:25], v251 offset0:62 offset1:197
	s_waitcnt vmcnt(0) lgkmcnt(1)
	v_mul_f32_e32 v10, v15, v7
	v_fmac_f32_e32 v10, v14, v6
	v_mul_f32_e32 v6, v15, v6
	v_fma_f32 v6, v14, v7, -v6
	v_cvt_f64_f32_e32 v[10:11], v10
	v_cvt_f64_f32_e32 v[6:7], v6
	v_mul_f64 v[10:11], v[10:11], s[2:3]
	v_mul_f64 v[6:7], v[6:7], s[2:3]
	v_cvt_f32_f64_e32 v10, v[10:11]
	v_cvt_f32_f64_e32 v11, v[6:7]
	v_add_co_u32_e32 v6, vcc, s5, v8
	v_mov_b32_e32 v7, s4
	v_addc_co_u32_e32 v7, vcc, v9, v7, vcc
	global_store_dwordx2 v[6:7], v[10:11], off
	buffer_load_dword v9, off, s[24:27], 0 offset:104 ; 4-byte Folded Reload
	s_nop 0
	buffer_load_dword v10, off, s[24:27], 0 offset:108 ; 4-byte Folded Reload
	s_waitcnt vmcnt(0) lgkmcnt(0)
	v_mul_f32_e32 v8, v10, v23
	v_fmac_f32_e32 v8, v9, v22
	v_mov_b32_e32 v11, v10
	v_mov_b32_e32 v10, v9
	v_cvt_f64_f32_e32 v[8:9], v8
	v_mul_f64 v[8:9], v[8:9], s[2:3]
	v_cvt_f32_f64_e32 v8, v[8:9]
	v_mul_f32_e32 v9, v11, v22
	v_fma_f32 v9, v10, v23, -v9
	v_cvt_f64_f32_e32 v[9:10], v9
	v_mul_f64 v[9:10], v[9:10], s[2:3]
	v_cvt_f32_f64_e32 v9, v[9:10]
	v_add_co_u32_e32 v10, vcc, s5, v6
	v_mov_b32_e32 v6, s4
	v_addc_co_u32_e32 v11, vcc, v7, v6, vcc
	global_store_dwordx2 v[10:11], v[8:9], off
	ds_read2_b64 v[6:9], v222 offset0:12 offset1:147
	buffer_load_dword v18, off, s[24:27], 0 offset:88 ; 4-byte Folded Reload
	buffer_load_dword v19, off, s[24:27], 0 offset:92 ; 4-byte Folded Reload
	ds_read2_b64 v[26:29], v253 offset0:40 offset1:175
	s_waitcnt vmcnt(0) lgkmcnt(1)
	v_mul_f32_e32 v14, v19, v9
	v_fmac_f32_e32 v14, v18, v8
	v_mul_f32_e32 v8, v19, v8
	v_fma_f32 v8, v18, v9, -v8
	v_cvt_f64_f32_e32 v[14:15], v14
	v_cvt_f64_f32_e32 v[8:9], v8
	v_mul_f64 v[14:15], v[14:15], s[2:3]
	v_mul_f64 v[8:9], v[8:9], s[2:3]
	v_cvt_f32_f64_e32 v14, v[14:15]
	v_cvt_f32_f64_e32 v15, v[8:9]
	v_add_co_u32_e32 v8, vcc, s5, v10
	v_mov_b32_e32 v9, s4
	v_addc_co_u32_e32 v9, vcc, v11, v9, vcc
	global_store_dwordx2 v[8:9], v[14:15], off
	buffer_load_dword v14, off, s[24:27], 0 offset:64 ; 4-byte Folded Reload
	s_nop 0
	buffer_load_dword v15, off, s[24:27], 0 offset:68 ; 4-byte Folded Reload
	s_waitcnt vmcnt(0) lgkmcnt(0)
	v_mul_f32_e32 v10, v15, v27
	v_fmac_f32_e32 v10, v14, v26
	v_cvt_f64_f32_e32 v[10:11], v10
	v_mul_f64 v[10:11], v[10:11], s[2:3]
	v_cvt_f32_f64_e32 v10, v[10:11]
	v_mul_f32_e32 v11, v15, v26
	v_fma_f32 v11, v14, v27, -v11
	v_cvt_f64_f32_e32 v[14:15], v11
	v_mul_f64 v[14:15], v[14:15], s[2:3]
	v_cvt_f32_f64_e32 v11, v[14:15]
	v_add_co_u32_e32 v14, vcc, s5, v8
	v_mov_b32_e32 v8, s4
	v_addc_co_u32_e32 v15, vcc, v9, v8, vcc
	global_store_dwordx2 v[14:15], v[10:11], off
	ds_read2_b64 v[8:11], v252 offset0:54 offset1:189
	buffer_load_dword v22, off, s[24:27], 0 offset:48 ; 4-byte Folded Reload
	buffer_load_dword v23, off, s[24:27], 0 offset:52 ; 4-byte Folded Reload
	s_waitcnt vmcnt(0) lgkmcnt(0)
	v_mul_f32_e32 v18, v23, v11
	v_fmac_f32_e32 v18, v22, v10
	v_mul_f32_e32 v10, v23, v10
	v_fma_f32 v10, v22, v11, -v10
	v_cvt_f64_f32_e32 v[18:19], v18
	v_cvt_f64_f32_e32 v[10:11], v10
	v_mul_f64 v[18:19], v[18:19], s[2:3]
	v_mul_f64 v[10:11], v[10:11], s[2:3]
	v_cvt_f32_f64_e32 v18, v[18:19]
	v_cvt_f32_f64_e32 v19, v[10:11]
	v_add_co_u32_e32 v10, vcc, s5, v14
	v_mov_b32_e32 v11, s4
	v_addc_co_u32_e32 v11, vcc, v15, v11, vcc
	global_store_dwordx2 v[10:11], v[18:19], off
	buffer_load_dword v18, off, s[24:27], 0 offset:120 ; 4-byte Folded Reload
	s_nop 0
	buffer_load_dword v19, off, s[24:27], 0 offset:124 ; 4-byte Folded Reload
	s_waitcnt vmcnt(0)
	v_mul_f32_e32 v14, v19, v13
	v_fmac_f32_e32 v14, v18, v12
	v_mul_f32_e32 v12, v19, v12
	v_fma_f32 v12, v18, v13, -v12
	v_cvt_f64_f32_e32 v[14:15], v14
	v_cvt_f64_f32_e32 v[12:13], v12
	v_mad_u64_u32 v[18:19], s[6:7], s0, v30, v[10:11]
	v_mul_f64 v[14:15], v[14:15], s[2:3]
	v_mul_f64 v[12:13], v[12:13], s[2:3]
	v_add_u32_e32 v19, s1, v19
	v_cvt_f32_f64_e32 v14, v[14:15]
	v_cvt_f32_f64_e32 v15, v[12:13]
	ds_read2_b64 v[10:13], v214 offset0:28 offset1:163
	global_store_dwordx2 v[18:19], v[14:15], off
	buffer_load_dword v22, off, s[24:27], 0 offset:96 ; 4-byte Folded Reload
	buffer_load_dword v23, off, s[24:27], 0 offset:100 ; 4-byte Folded Reload
	s_waitcnt vmcnt(0) lgkmcnt(0)
	v_mul_f32_e32 v14, v23, v11
	v_fmac_f32_e32 v14, v22, v10
	v_mul_f32_e32 v10, v23, v10
	v_fma_f32 v10, v22, v11, -v10
	v_cvt_f64_f32_e32 v[14:15], v14
	v_cvt_f64_f32_e32 v[10:11], v10
	v_mul_f64 v[14:15], v[14:15], s[2:3]
	v_mul_f64 v[10:11], v[10:11], s[2:3]
	v_cvt_f32_f64_e32 v14, v[14:15]
	v_cvt_f32_f64_e32 v15, v[10:11]
	v_add_co_u32_e32 v10, vcc, s5, v18
	v_mov_b32_e32 v11, s4
	v_addc_co_u32_e32 v11, vcc, v19, v11, vcc
	global_store_dwordx2 v[10:11], v[14:15], off
	buffer_load_dword v18, off, s[24:27], 0 offset:80 ; 4-byte Folded Reload
	buffer_load_dword v19, off, s[24:27], 0 offset:84 ; 4-byte Folded Reload
	v_add_co_u32_e32 v10, vcc, s5, v10
	s_waitcnt vmcnt(0)
	v_mul_f32_e32 v14, v19, v17
	v_fmac_f32_e32 v14, v18, v16
	v_cvt_f64_f32_e32 v[14:15], v14
	v_mul_f64 v[14:15], v[14:15], s[2:3]
	v_cvt_f32_f64_e32 v14, v[14:15]
	v_mul_f32_e32 v15, v19, v16
	v_fma_f32 v15, v18, v17, -v15
	v_cvt_f64_f32_e32 v[15:16], v15
	v_mul_f64 v[15:16], v[15:16], s[2:3]
	v_cvt_f32_f64_e32 v15, v[15:16]
	v_mov_b32_e32 v16, s4
	v_addc_co_u32_e32 v11, vcc, v11, v16, vcc
	global_store_dwordx2 v[10:11], v[14:15], off
	ds_read2_b64 v[14:17], v218 offset0:70 offset1:205
	buffer_load_dword v22, off, s[24:27], 0 offset:56 ; 4-byte Folded Reload
	buffer_load_dword v23, off, s[24:27], 0 offset:60 ; 4-byte Folded Reload
	v_add_co_u32_e32 v10, vcc, s5, v10
	s_waitcnt vmcnt(0) lgkmcnt(0)
	v_mul_f32_e32 v18, v23, v15
	v_fmac_f32_e32 v18, v22, v14
	v_mul_f32_e32 v14, v23, v14
	v_fma_f32 v14, v22, v15, -v14
	v_cvt_f64_f32_e32 v[18:19], v18
	v_cvt_f64_f32_e32 v[14:15], v14
	v_mul_f64 v[18:19], v[18:19], s[2:3]
	v_mul_f64 v[14:15], v[14:15], s[2:3]
	v_cvt_f32_f64_e32 v18, v[18:19]
	v_cvt_f32_f64_e32 v19, v[14:15]
	v_mov_b32_e32 v14, s4
	v_addc_co_u32_e32 v11, vcc, v11, v14, vcc
	global_store_dwordx2 v[10:11], v[18:19], off
	buffer_load_dword v18, off, s[24:27], 0 offset:40 ; 4-byte Folded Reload
	s_nop 0
	buffer_load_dword v19, off, s[24:27], 0 offset:44 ; 4-byte Folded Reload
	v_add_co_u32_e32 v10, vcc, s5, v10
	s_waitcnt vmcnt(0)
	v_mul_f32_e32 v14, v19, v21
	v_fmac_f32_e32 v14, v18, v20
	v_cvt_f64_f32_e32 v[14:15], v14
	v_mul_f64 v[14:15], v[14:15], s[2:3]
	v_cvt_f32_f64_e32 v14, v[14:15]
	v_mul_f32_e32 v15, v19, v20
	v_fma_f32 v15, v18, v21, -v15
	v_cvt_f64_f32_e32 v[18:19], v15
	v_mul_f64 v[18:19], v[18:19], s[2:3]
	v_cvt_f32_f64_e32 v15, v[18:19]
	v_mov_b32_e32 v18, s4
	v_addc_co_u32_e32 v11, vcc, v11, v18, vcc
	global_store_dwordx2 v[10:11], v[14:15], off
	ds_read2_b64 v[18:21], v255 offset0:112 offset1:247
	buffer_load_dword v22, off, s[24:27], 0 offset:32 ; 4-byte Folded Reload
	buffer_load_dword v23, off, s[24:27], 0 offset:36 ; 4-byte Folded Reload
	v_add_co_u32_e32 v10, vcc, s5, v10
	s_waitcnt vmcnt(0) lgkmcnt(0)
	v_mul_f32_e32 v14, v23, v19
	v_fmac_f32_e32 v14, v22, v18
	v_cvt_f64_f32_e32 v[14:15], v14
	v_mul_f64 v[14:15], v[14:15], s[2:3]
	v_cvt_f32_f64_e32 v14, v[14:15]
	v_mul_f32_e32 v15, v23, v18
	v_fma_f32 v15, v22, v19, -v15
	v_cvt_f64_f32_e32 v[18:19], v15
	v_mul_f64 v[18:19], v[18:19], s[2:3]
	v_cvt_f32_f64_e32 v15, v[18:19]
	v_mov_b32_e32 v18, s4
	v_addc_co_u32_e32 v11, vcc, v11, v18, vcc
	global_store_dwordx2 v[10:11], v[14:15], off
	buffer_load_dword v18, off, s[24:27], 0 offset:24 ; 4-byte Folded Reload
	buffer_load_dword v19, off, s[24:27], 0 offset:28 ; 4-byte Folded Reload
	v_add_co_u32_e32 v10, vcc, s5, v10
	s_waitcnt vmcnt(0)
	v_mul_f32_e32 v14, v19, v25
	v_fmac_f32_e32 v14, v18, v24
	v_cvt_f64_f32_e32 v[14:15], v14
	v_mul_f64 v[14:15], v[14:15], s[2:3]
	v_cvt_f32_f64_e32 v14, v[14:15]
	v_mul_f32_e32 v15, v19, v24
	v_fma_f32 v15, v18, v25, -v15
	v_cvt_f64_f32_e32 v[18:19], v15
	ds_read2_b64 v[22:25], v217 offset0:26 offset1:161
	v_mul_f64 v[18:19], v[18:19], s[2:3]
	v_cvt_f32_f64_e32 v15, v[18:19]
	v_mov_b32_e32 v18, s4
	v_addc_co_u32_e32 v11, vcc, v11, v18, vcc
	global_store_dwordx2 v[10:11], v[14:15], off
	buffer_load_dword v18, off, s[24:27], 0 offset:16 ; 4-byte Folded Reload
	buffer_load_dword v19, off, s[24:27], 0 offset:20 ; 4-byte Folded Reload
	v_add_co_u32_e32 v10, vcc, s5, v10
	s_waitcnt vmcnt(0) lgkmcnt(0)
	v_mul_f32_e32 v14, v19, v23
	v_fmac_f32_e32 v14, v18, v22
	v_cvt_f64_f32_e32 v[14:15], v14
	v_mul_f64 v[14:15], v[14:15], s[2:3]
	v_cvt_f32_f64_e32 v14, v[14:15]
	v_mul_f32_e32 v15, v19, v22
	v_fma_f32 v15, v18, v23, -v15
	v_cvt_f64_f32_e32 v[18:19], v15
	v_mul_f64 v[18:19], v[18:19], s[2:3]
	v_cvt_f32_f64_e32 v15, v[18:19]
	v_mov_b32_e32 v18, s4
	v_addc_co_u32_e32 v11, vcc, v11, v18, vcc
	global_store_dwordx2 v[10:11], v[14:15], off
	buffer_load_dword v18, off, s[24:27], 0 offset:8 ; 4-byte Folded Reload
	buffer_load_dword v19, off, s[24:27], 0 offset:12 ; 4-byte Folded Reload
	v_add_co_u32_e32 v10, vcc, s5, v10
	s_waitcnt vmcnt(0)
	v_mul_f32_e32 v14, v19, v29
	v_fmac_f32_e32 v14, v18, v28
	v_cvt_f64_f32_e32 v[14:15], v14
	v_mul_f64 v[14:15], v[14:15], s[2:3]
	v_cvt_f32_f64_e32 v14, v[14:15]
	v_mul_f32_e32 v15, v19, v28
	v_fma_f32 v15, v18, v29, -v15
	v_cvt_f64_f32_e32 v[18:19], v15
	ds_read2_b64 v[26:29], v254 offset0:68 offset1:203
	v_mul_f64 v[18:19], v[18:19], s[2:3]
	v_cvt_f32_f64_e32 v15, v[18:19]
	v_mov_b32_e32 v18, s4
	v_addc_co_u32_e32 v11, vcc, v11, v18, vcc
	global_store_dwordx2 v[10:11], v[14:15], off
	buffer_load_dword v18, off, s[24:27], 0 ; 4-byte Folded Reload
	buffer_load_dword v19, off, s[24:27], 0 offset:4 ; 4-byte Folded Reload
	v_add_co_u32_e32 v10, vcc, s5, v10
	s_waitcnt vmcnt(0) lgkmcnt(0)
	v_mul_f32_e32 v14, v19, v27
	v_fmac_f32_e32 v14, v18, v26
	v_cvt_f64_f32_e32 v[14:15], v14
	v_mul_f64 v[14:15], v[14:15], s[2:3]
	v_cvt_f32_f64_e32 v14, v[14:15]
	v_mul_f32_e32 v15, v19, v26
	v_fma_f32 v15, v18, v27, -v15
	v_cvt_f64_f32_e32 v[18:19], v15
	v_mul_f64 v[18:19], v[18:19], s[2:3]
	v_cvt_f32_f64_e32 v15, v[18:19]
	v_mov_b32_e32 v18, s4
	v_addc_co_u32_e32 v11, vcc, v11, v18, vcc
	global_store_dwordx2 v[10:11], v[14:15], off
	buffer_load_dword v18, off, s[24:27], 0 offset:72 ; 4-byte Folded Reload
	buffer_load_dword v19, off, s[24:27], 0 offset:76 ; 4-byte Folded Reload
	s_waitcnt vmcnt(0)
	v_mul_f32_e32 v14, v19, v1
	v_fmac_f32_e32 v14, v18, v0
	v_mul_f32_e32 v0, v19, v0
	v_fma_f32 v0, v18, v1, -v0
	v_cvt_f64_f32_e32 v[14:15], v14
	v_cvt_f64_f32_e32 v[0:1], v0
	v_mul_f64 v[14:15], v[14:15], s[2:3]
	v_mul_f64 v[0:1], v[0:1], s[2:3]
	v_cvt_f32_f64_e32 v14, v[14:15]
	v_cvt_f32_f64_e32 v15, v[0:1]
	v_mad_u64_u32 v[0:1], s[6:7], s0, v30, v[10:11]
	v_add_u32_e32 v1, s1, v1
	global_store_dwordx2 v[0:1], v[14:15], off
	buffer_load_dword v14, off, s[24:27], 0 offset:168 ; 4-byte Folded Reload
	s_nop 0
	buffer_load_dword v15, off, s[24:27], 0 offset:172 ; 4-byte Folded Reload
	v_add_co_u32_e32 v0, vcc, s5, v0
	s_waitcnt vmcnt(0)
	v_mul_f32_e32 v10, v15, v13
	v_fmac_f32_e32 v10, v14, v12
	v_cvt_f64_f32_e32 v[10:11], v10
	v_mul_f64 v[10:11], v[10:11], s[2:3]
	v_cvt_f32_f64_e32 v10, v[10:11]
	v_mul_f32_e32 v11, v15, v12
	v_fma_f32 v11, v14, v13, -v11
	v_cvt_f64_f32_e32 v[11:12], v11
	v_mul_f64 v[11:12], v[11:12], s[2:3]
	v_cvt_f32_f64_e32 v11, v[11:12]
	v_mov_b32_e32 v12, s4
	v_addc_co_u32_e32 v1, vcc, v1, v12, vcc
	global_store_dwordx2 v[0:1], v[10:11], off
	buffer_load_dword v11, off, s[24:27], 0 offset:112 ; 4-byte Folded Reload
	s_nop 0
	buffer_load_dword v12, off, s[24:27], 0 offset:116 ; 4-byte Folded Reload
	v_add_co_u32_e32 v0, vcc, s5, v0
	s_waitcnt vmcnt(0)
	v_mul_f32_e32 v10, v12, v3
	v_mov_b32_e32 v13, v12
	v_fmac_f32_e32 v10, v11, v2
	v_mov_b32_e32 v12, v11
	v_mul_f32_e32 v2, v13, v2
	v_fma_f32 v2, v12, v3, -v2
	v_cvt_f64_f32_e32 v[10:11], v10
	v_cvt_f64_f32_e32 v[2:3], v2
	v_mul_f64 v[10:11], v[10:11], s[2:3]
	v_mul_f64 v[2:3], v[2:3], s[2:3]
	v_cvt_f32_f64_e32 v10, v[10:11]
	v_cvt_f32_f64_e32 v11, v[2:3]
	v_mov_b32_e32 v2, s4
	v_addc_co_u32_e32 v1, vcc, v1, v2, vcc
	global_store_dwordx2 v[0:1], v[10:11], off
	buffer_load_dword v10, off, s[24:27], 0 offset:152 ; 4-byte Folded Reload
	s_nop 0
	buffer_load_dword v11, off, s[24:27], 0 offset:156 ; 4-byte Folded Reload
	v_add_co_u32_e32 v0, vcc, s5, v0
	s_waitcnt vmcnt(0)
	v_mul_f32_e32 v2, v11, v17
	v_fmac_f32_e32 v2, v10, v16
	v_cvt_f64_f32_e32 v[2:3], v2
	v_mul_f64 v[2:3], v[2:3], s[2:3]
	v_cvt_f32_f64_e32 v2, v[2:3]
	v_mul_f32_e32 v3, v11, v16
	v_fma_f32 v3, v10, v17, -v3
	v_cvt_f64_f32_e32 v[10:11], v3
	v_mul_f64 v[10:11], v[10:11], s[2:3]
	v_cvt_f32_f64_e32 v3, v[10:11]
	v_mov_b32_e32 v10, s4
	v_addc_co_u32_e32 v1, vcc, v1, v10, vcc
	global_store_dwordx2 v[0:1], v[2:3], off
	buffer_load_dword v10, off, s[24:27], 0 offset:160 ; 4-byte Folded Reload
	buffer_load_dword v11, off, s[24:27], 0 offset:164 ; 4-byte Folded Reload
	v_add_co_u32_e32 v0, vcc, s5, v0
	s_waitcnt vmcnt(0)
	v_mul_f32_e32 v2, v11, v5
	v_fmac_f32_e32 v2, v10, v4
	v_cvt_f64_f32_e32 v[2:3], v2
	v_mul_f64 v[2:3], v[2:3], s[2:3]
	v_cvt_f32_f64_e32 v2, v[2:3]
	v_mul_f32_e32 v3, v11, v4
	v_fma_f32 v3, v10, v5, -v3
	v_cvt_f64_f32_e32 v[3:4], v3
	v_mul_f64 v[3:4], v[3:4], s[2:3]
	v_cvt_f32_f64_e32 v3, v[3:4]
	v_mov_b32_e32 v4, s4
	v_addc_co_u32_e32 v1, vcc, v1, v4, vcc
	global_store_dwordx2 v[0:1], v[2:3], off
	buffer_load_dword v3, off, s[24:27], 0 offset:184 ; 4-byte Folded Reload
	s_nop 0
	buffer_load_dword v4, off, s[24:27], 0 offset:188 ; 4-byte Folded Reload
	v_add_co_u32_e32 v0, vcc, s5, v0
	s_waitcnt vmcnt(0)
	v_mul_f32_e32 v2, v4, v21
	v_fmac_f32_e32 v2, v3, v20
	v_mov_b32_e32 v5, v4
	v_mov_b32_e32 v4, v3
	v_cvt_f64_f32_e32 v[2:3], v2
	v_mul_f64 v[2:3], v[2:3], s[2:3]
	v_cvt_f32_f64_e32 v2, v[2:3]
	v_mul_f32_e32 v3, v5, v20
	v_fma_f32 v3, v4, v21, -v3
	v_cvt_f64_f32_e32 v[3:4], v3
	v_mul_f64 v[3:4], v[3:4], s[2:3]
	v_cvt_f32_f64_e32 v3, v[3:4]
	v_mov_b32_e32 v4, s4
	v_addc_co_u32_e32 v1, vcc, v1, v4, vcc
	global_store_dwordx2 v[0:1], v[2:3], off
	buffer_load_dword v3, off, s[24:27], 0 offset:192 ; 4-byte Folded Reload
	s_nop 0
	buffer_load_dword v4, off, s[24:27], 0 offset:196 ; 4-byte Folded Reload
	v_add_co_u32_e32 v0, vcc, s5, v0
	s_waitcnt vmcnt(0)
	v_mul_f32_e32 v2, v4, v7
	v_fmac_f32_e32 v2, v3, v6
	v_mov_b32_e32 v5, v4
	v_mov_b32_e32 v4, v3
	;; [unrolled: 20-line block ×5, first 2 shown]
	v_cvt_f64_f32_e32 v[2:3], v2
	v_mul_f64 v[2:3], v[2:3], s[2:3]
	v_cvt_f32_f64_e32 v2, v[2:3]
	v_mul_f32_e32 v3, v5, v28
	v_fma_f32 v3, v4, v29, -v3
	v_cvt_f64_f32_e32 v[3:4], v3
	v_mul_f64 v[3:4], v[3:4], s[2:3]
	v_cvt_f32_f64_e32 v3, v[3:4]
	v_mov_b32_e32 v4, s4
	v_addc_co_u32_e32 v1, vcc, v1, v4, vcc
	global_store_dwordx2 v[0:1], v[2:3], off
.LBB0_2:
	s_endpgm
	.section	.rodata,"a",@progbits
	.p2align	6, 0x0
	.amdhsa_kernel bluestein_single_fwd_len4050_dim1_sp_op_CI_CI
		.amdhsa_group_segment_fixed_size 32400
		.amdhsa_private_segment_fixed_size 568
		.amdhsa_kernarg_size 104
		.amdhsa_user_sgpr_count 6
		.amdhsa_user_sgpr_private_segment_buffer 1
		.amdhsa_user_sgpr_dispatch_ptr 0
		.amdhsa_user_sgpr_queue_ptr 0
		.amdhsa_user_sgpr_kernarg_segment_ptr 1
		.amdhsa_user_sgpr_dispatch_id 0
		.amdhsa_user_sgpr_flat_scratch_init 0
		.amdhsa_user_sgpr_private_segment_size 0
		.amdhsa_uses_dynamic_stack 0
		.amdhsa_system_sgpr_private_segment_wavefront_offset 1
		.amdhsa_system_sgpr_workgroup_id_x 1
		.amdhsa_system_sgpr_workgroup_id_y 0
		.amdhsa_system_sgpr_workgroup_id_z 0
		.amdhsa_system_sgpr_workgroup_info 0
		.amdhsa_system_vgpr_workitem_id 0
		.amdhsa_next_free_vgpr 256
		.amdhsa_next_free_sgpr 28
		.amdhsa_reserve_vcc 1
		.amdhsa_reserve_flat_scratch 0
		.amdhsa_float_round_mode_32 0
		.amdhsa_float_round_mode_16_64 0
		.amdhsa_float_denorm_mode_32 3
		.amdhsa_float_denorm_mode_16_64 3
		.amdhsa_dx10_clamp 1
		.amdhsa_ieee_mode 1
		.amdhsa_fp16_overflow 0
		.amdhsa_exception_fp_ieee_invalid_op 0
		.amdhsa_exception_fp_denorm_src 0
		.amdhsa_exception_fp_ieee_div_zero 0
		.amdhsa_exception_fp_ieee_overflow 0
		.amdhsa_exception_fp_ieee_underflow 0
		.amdhsa_exception_fp_ieee_inexact 0
		.amdhsa_exception_int_div_zero 0
	.end_amdhsa_kernel
	.text
.Lfunc_end0:
	.size	bluestein_single_fwd_len4050_dim1_sp_op_CI_CI, .Lfunc_end0-bluestein_single_fwd_len4050_dim1_sp_op_CI_CI
                                        ; -- End function
	.section	.AMDGPU.csdata,"",@progbits
; Kernel info:
; codeLenInByte = 36236
; NumSgprs: 32
; NumVgprs: 256
; ScratchSize: 568
; MemoryBound: 0
; FloatMode: 240
; IeeeMode: 1
; LDSByteSize: 32400 bytes/workgroup (compile time only)
; SGPRBlocks: 3
; VGPRBlocks: 63
; NumSGPRsForWavesPerEU: 32
; NumVGPRsForWavesPerEU: 256
; Occupancy: 1
; WaveLimiterHint : 1
; COMPUTE_PGM_RSRC2:SCRATCH_EN: 1
; COMPUTE_PGM_RSRC2:USER_SGPR: 6
; COMPUTE_PGM_RSRC2:TRAP_HANDLER: 0
; COMPUTE_PGM_RSRC2:TGID_X_EN: 1
; COMPUTE_PGM_RSRC2:TGID_Y_EN: 0
; COMPUTE_PGM_RSRC2:TGID_Z_EN: 0
; COMPUTE_PGM_RSRC2:TIDIG_COMP_CNT: 0
	.type	__hip_cuid_c7f13db43580813,@object ; @__hip_cuid_c7f13db43580813
	.section	.bss,"aw",@nobits
	.globl	__hip_cuid_c7f13db43580813
__hip_cuid_c7f13db43580813:
	.byte	0                               ; 0x0
	.size	__hip_cuid_c7f13db43580813, 1

	.ident	"AMD clang version 19.0.0git (https://github.com/RadeonOpenCompute/llvm-project roc-6.4.0 25133 c7fe45cf4b819c5991fe208aaa96edf142730f1d)"
	.section	".note.GNU-stack","",@progbits
	.addrsig
	.addrsig_sym __hip_cuid_c7f13db43580813
	.amdgpu_metadata
---
amdhsa.kernels:
  - .args:
      - .actual_access:  read_only
        .address_space:  global
        .offset:         0
        .size:           8
        .value_kind:     global_buffer
      - .actual_access:  read_only
        .address_space:  global
        .offset:         8
        .size:           8
        .value_kind:     global_buffer
      - .actual_access:  read_only
        .address_space:  global
        .offset:         16
        .size:           8
        .value_kind:     global_buffer
      - .actual_access:  read_only
        .address_space:  global
        .offset:         24
        .size:           8
        .value_kind:     global_buffer
      - .actual_access:  read_only
        .address_space:  global
        .offset:         32
        .size:           8
        .value_kind:     global_buffer
      - .offset:         40
        .size:           8
        .value_kind:     by_value
      - .address_space:  global
        .offset:         48
        .size:           8
        .value_kind:     global_buffer
      - .address_space:  global
        .offset:         56
        .size:           8
        .value_kind:     global_buffer
      - .address_space:  global
        .offset:         64
        .size:           8
        .value_kind:     global_buffer
      - .address_space:  global
        .offset:         72
        .size:           8
        .value_kind:     global_buffer
      - .offset:         80
        .size:           4
        .value_kind:     by_value
      - .address_space:  global
        .offset:         88
        .size:           8
        .value_kind:     global_buffer
      - .address_space:  global
        .offset:         96
        .size:           8
        .value_kind:     global_buffer
    .group_segment_fixed_size: 32400
    .kernarg_segment_align: 8
    .kernarg_segment_size: 104
    .language:       OpenCL C
    .language_version:
      - 2
      - 0
    .max_flat_workgroup_size: 135
    .name:           bluestein_single_fwd_len4050_dim1_sp_op_CI_CI
    .private_segment_fixed_size: 568
    .sgpr_count:     32
    .sgpr_spill_count: 0
    .symbol:         bluestein_single_fwd_len4050_dim1_sp_op_CI_CI.kd
    .uniform_work_group_size: 1
    .uses_dynamic_stack: false
    .vgpr_count:     256
    .vgpr_spill_count: 141
    .wavefront_size: 64
amdhsa.target:   amdgcn-amd-amdhsa--gfx906
amdhsa.version:
  - 1
  - 2
...

	.end_amdgpu_metadata
